;; amdgpu-corpus repo=ROCm/rocFFT kind=compiled arch=gfx950 opt=O3
	.text
	.amdgcn_target "amdgcn-amd-amdhsa--gfx950"
	.amdhsa_code_object_version 6
	.protected	fft_rtc_back_len595_factors_7_17_5_wgs_51_tpt_17_halfLds_dp_op_CI_CI_sbrr_dirReg ; -- Begin function fft_rtc_back_len595_factors_7_17_5_wgs_51_tpt_17_halfLds_dp_op_CI_CI_sbrr_dirReg
	.globl	fft_rtc_back_len595_factors_7_17_5_wgs_51_tpt_17_halfLds_dp_op_CI_CI_sbrr_dirReg
	.p2align	8
	.type	fft_rtc_back_len595_factors_7_17_5_wgs_51_tpt_17_halfLds_dp_op_CI_CI_sbrr_dirReg,@function
fft_rtc_back_len595_factors_7_17_5_wgs_51_tpt_17_halfLds_dp_op_CI_CI_sbrr_dirReg: ; @fft_rtc_back_len595_factors_7_17_5_wgs_51_tpt_17_halfLds_dp_op_CI_CI_sbrr_dirReg
; %bb.0:
	s_load_dwordx4 s[12:15], s[0:1], 0x18
	s_load_dwordx4 s[8:11], s[0:1], 0x0
	;; [unrolled: 1-line block ×3, first 2 shown]
	v_mul_u32_u24_e32 v1, 0xf10, v0
	v_lshrrev_b32_e32 v2, 16, v1
	s_waitcnt lgkmcnt(0)
	s_load_dwordx2 s[18:19], s[12:13], 0x0
	s_load_dwordx2 s[16:17], s[14:15], 0x0
	v_mad_u64_u32 v[4:5], s[2:3], s2, 3, v[2:3]
	v_mov_b32_e32 v2, 0
	v_mov_b32_e32 v5, v2
	v_cmp_lt_u64_e64 s[2:3], s[10:11], 2
	v_mov_b64_e32 v[6:7], 0
	s_and_b64 vcc, exec, s[2:3]
	v_mov_b64_e32 v[232:233], v[6:7]
	v_mov_b64_e32 v[234:235], v[4:5]
	s_cbranch_vccnz .LBB0_8
; %bb.1:
	s_load_dwordx2 s[2:3], s[0:1], 0x10
	s_add_u32 s20, s14, 8
	s_addc_u32 s21, s15, 0
	s_add_u32 s22, s12, 8
	s_addc_u32 s23, s13, 0
	s_waitcnt lgkmcnt(0)
	s_add_u32 s24, s2, 8
	v_mov_b64_e32 v[6:7], 0
	s_addc_u32 s25, s3, 0
	s_mov_b64 s[26:27], 1
	v_mov_b64_e32 v[232:233], v[6:7]
	v_mov_b64_e32 v[8:9], v[4:5]
.LBB0_2:                                ; =>This Inner Loop Header: Depth=1
	s_load_dwordx2 s[28:29], s[24:25], 0x0
                                        ; implicit-def: $vgpr234_vgpr235
	s_waitcnt lgkmcnt(0)
	v_or_b32_e32 v3, s29, v9
	v_cmp_ne_u64_e32 vcc, 0, v[2:3]
	s_and_saveexec_b64 s[2:3], vcc
	s_xor_b64 s[30:31], exec, s[2:3]
	s_cbranch_execz .LBB0_4
; %bb.3:                                ;   in Loop: Header=BB0_2 Depth=1
	v_cvt_f32_u32_e32 v1, s28
	v_cvt_f32_u32_e32 v3, s29
	s_sub_u32 s2, 0, s28
	s_subb_u32 s3, 0, s29
	v_fmac_f32_e32 v1, 0x4f800000, v3
	v_rcp_f32_e32 v1, v1
	s_nop 0
	v_mul_f32_e32 v1, 0x5f7ffffc, v1
	v_mul_f32_e32 v3, 0x2f800000, v1
	v_trunc_f32_e32 v3, v3
	v_fmac_f32_e32 v1, 0xcf800000, v3
	v_cvt_u32_f32_e32 v3, v3
	v_cvt_u32_f32_e32 v1, v1
	v_mul_lo_u32 v5, s2, v3
	v_mul_hi_u32 v10, s2, v1
	v_mul_lo_u32 v11, s3, v1
	v_add_u32_e32 v5, v10, v5
	v_mul_lo_u32 v14, s2, v1
	v_add_u32_e32 v5, v5, v11
	v_mul_hi_u32 v10, v1, v14
	v_mul_hi_u32 v13, v1, v5
	v_mul_lo_u32 v12, v1, v5
	v_mov_b32_e32 v11, v2
	v_lshl_add_u64 v[10:11], v[10:11], 0, v[12:13]
	v_mul_hi_u32 v13, v3, v14
	v_mul_lo_u32 v14, v3, v14
	v_add_co_u32_e32 v10, vcc, v10, v14
	v_mul_hi_u32 v12, v3, v5
	s_nop 0
	v_addc_co_u32_e32 v10, vcc, v11, v13, vcc
	v_mov_b32_e32 v11, v2
	s_nop 0
	v_addc_co_u32_e32 v13, vcc, 0, v12, vcc
	v_mul_lo_u32 v12, v3, v5
	v_lshl_add_u64 v[10:11], v[10:11], 0, v[12:13]
	v_add_co_u32_e32 v1, vcc, v1, v10
	v_mul_hi_u32 v10, s2, v1
	s_nop 0
	v_addc_co_u32_e32 v3, vcc, v3, v11, vcc
	v_mul_lo_u32 v5, s2, v3
	v_add_u32_e32 v5, v10, v5
	v_mul_lo_u32 v10, s3, v1
	v_add_u32_e32 v5, v5, v10
	v_mul_lo_u32 v12, s2, v1
	v_mul_hi_u32 v15, v3, v12
	v_mul_lo_u32 v16, v3, v12
	v_mul_hi_u32 v11, v1, v5
	v_mul_lo_u32 v10, v1, v5
	v_mul_hi_u32 v12, v1, v12
	v_mov_b32_e32 v13, v2
	v_lshl_add_u64 v[10:11], v[12:13], 0, v[10:11]
	v_add_co_u32_e32 v10, vcc, v10, v16
	v_mul_hi_u32 v14, v3, v5
	s_nop 0
	v_addc_co_u32_e32 v10, vcc, v11, v15, vcc
	v_mul_lo_u32 v12, v3, v5
	s_nop 0
	v_addc_co_u32_e32 v13, vcc, 0, v14, vcc
	v_mov_b32_e32 v11, v2
	v_lshl_add_u64 v[10:11], v[10:11], 0, v[12:13]
	v_add_co_u32_e32 v1, vcc, v1, v10
	v_mul_hi_u32 v12, v8, v1
	s_nop 0
	v_addc_co_u32_e32 v3, vcc, v3, v11, vcc
	v_mad_u64_u32 v[10:11], s[2:3], v8, v3, 0
	v_mov_b32_e32 v13, v2
	v_lshl_add_u64 v[10:11], v[12:13], 0, v[10:11]
	v_mad_u64_u32 v[14:15], s[2:3], v9, v1, 0
	v_add_co_u32_e32 v1, vcc, v10, v14
	v_mad_u64_u32 v[12:13], s[2:3], v9, v3, 0
	s_nop 0
	v_addc_co_u32_e32 v10, vcc, v11, v15, vcc
	v_mov_b32_e32 v11, v2
	s_nop 0
	v_addc_co_u32_e32 v13, vcc, 0, v13, vcc
	v_lshl_add_u64 v[10:11], v[10:11], 0, v[12:13]
	v_mul_lo_u32 v1, s29, v10
	v_mul_lo_u32 v3, s28, v11
	v_mad_u64_u32 v[12:13], s[2:3], s28, v10, 0
	v_add3_u32 v1, v13, v3, v1
	v_sub_u32_e32 v3, v9, v1
	v_mov_b32_e32 v5, s29
	v_sub_co_u32_e32 v16, vcc, v8, v12
	v_lshl_add_u64 v[14:15], v[10:11], 0, 1
	s_nop 0
	v_subb_co_u32_e64 v3, s[2:3], v3, v5, vcc
	v_subrev_co_u32_e64 v5, s[2:3], s28, v16
	v_subb_co_u32_e32 v1, vcc, v9, v1, vcc
	s_nop 0
	v_subbrev_co_u32_e64 v3, s[2:3], 0, v3, s[2:3]
	v_cmp_le_u32_e64 s[2:3], s29, v3
	v_cmp_le_u32_e32 vcc, s29, v1
	s_nop 0
	v_cndmask_b32_e64 v12, 0, -1, s[2:3]
	v_cmp_le_u32_e64 s[2:3], s28, v5
	s_nop 1
	v_cndmask_b32_e64 v5, 0, -1, s[2:3]
	v_cmp_eq_u32_e64 s[2:3], s29, v3
	s_nop 1
	v_cndmask_b32_e64 v3, v12, v5, s[2:3]
	v_lshl_add_u64 v[12:13], v[10:11], 0, 2
	v_cmp_ne_u32_e64 s[2:3], 0, v3
	v_cndmask_b32_e64 v5, 0, -1, vcc
	v_cmp_le_u32_e32 vcc, s28, v16
	v_cndmask_b32_e64 v3, v15, v13, s[2:3]
	s_nop 0
	v_cndmask_b32_e64 v13, 0, -1, vcc
	v_cmp_eq_u32_e32 vcc, s29, v1
	s_nop 1
	v_cndmask_b32_e32 v1, v5, v13, vcc
	v_cmp_ne_u32_e32 vcc, 0, v1
	v_cndmask_b32_e64 v1, v14, v12, s[2:3]
	s_nop 0
	v_cndmask_b32_e32 v235, v11, v3, vcc
	v_cndmask_b32_e32 v234, v10, v1, vcc
.LBB0_4:                                ;   in Loop: Header=BB0_2 Depth=1
	s_andn2_saveexec_b64 s[2:3], s[30:31]
	s_cbranch_execz .LBB0_6
; %bb.5:                                ;   in Loop: Header=BB0_2 Depth=1
	v_cvt_f32_u32_e32 v1, s28
	s_sub_i32 s30, 0, s28
	v_mov_b32_e32 v235, v2
	v_rcp_iflag_f32_e32 v1, v1
	s_nop 0
	v_mul_f32_e32 v1, 0x4f7ffffe, v1
	v_cvt_u32_f32_e32 v1, v1
	v_mul_lo_u32 v3, s30, v1
	v_mul_hi_u32 v3, v1, v3
	v_add_u32_e32 v1, v1, v3
	v_mul_hi_u32 v1, v8, v1
	v_mul_lo_u32 v3, v1, s28
	v_sub_u32_e32 v3, v8, v3
	v_add_u32_e32 v5, 1, v1
	v_subrev_u32_e32 v10, s28, v3
	v_cmp_le_u32_e32 vcc, s28, v3
	s_nop 1
	v_cndmask_b32_e32 v3, v3, v10, vcc
	v_cndmask_b32_e32 v1, v1, v5, vcc
	v_add_u32_e32 v5, 1, v1
	v_cmp_le_u32_e32 vcc, s28, v3
	s_nop 1
	v_cndmask_b32_e32 v234, v1, v5, vcc
.LBB0_6:                                ;   in Loop: Header=BB0_2 Depth=1
	s_or_b64 exec, exec, s[2:3]
	v_mad_u64_u32 v[10:11], s[2:3], v234, s28, 0
	s_load_dwordx2 s[2:3], s[22:23], 0x0
	s_add_u32 s26, s26, 1
	v_mul_lo_u32 v1, v235, s28
	v_mul_lo_u32 v3, v234, s29
	s_load_dwordx2 s[28:29], s[20:21], 0x0
	s_addc_u32 s27, s27, 0
	v_add3_u32 v1, v11, v3, v1
	v_sub_co_u32_e32 v3, vcc, v8, v10
	s_add_u32 s20, s20, 8
	s_nop 0
	v_subb_co_u32_e32 v1, vcc, v9, v1, vcc
	s_addc_u32 s21, s21, 0
	s_waitcnt lgkmcnt(0)
	v_mul_lo_u32 v5, s2, v1
	v_mul_lo_u32 v8, s3, v3
	v_mad_u64_u32 v[6:7], s[2:3], s2, v3, v[6:7]
	s_add_u32 s22, s22, 8
	v_add3_u32 v7, v8, v7, v5
	s_addc_u32 s23, s23, 0
	v_mov_b64_e32 v[8:9], s[10:11]
	v_mul_lo_u32 v1, s28, v1
	v_mul_lo_u32 v5, s29, v3
	v_mad_u64_u32 v[232:233], s[2:3], s28, v3, v[232:233]
	s_add_u32 s24, s24, 8
	v_cmp_ge_u64_e32 vcc, s[26:27], v[8:9]
	v_add3_u32 v233, v5, v233, v1
	s_addc_u32 s25, s25, 0
	s_cbranch_vccnz .LBB0_8
; %bb.7:                                ;   in Loop: Header=BB0_2 Depth=1
	v_mov_b64_e32 v[8:9], v[234:235]
	s_branch .LBB0_2
.LBB0_8:
	s_load_dwordx2 s[0:1], s[0:1], 0x28
	s_lshl_b64 s[10:11], s[10:11], 3
	s_add_u32 s2, s14, s10
	s_addc_u32 s3, s15, s11
                                        ; implicit-def: $vgpr248
                                        ; implicit-def: $vgpr249
                                        ; implicit-def: $vgpr255
                                        ; implicit-def: $vgpr104
                                        ; implicit-def: $vgpr105
	s_waitcnt lgkmcnt(0)
	v_cmp_gt_u64_e32 vcc, s[0:1], v[234:235]
	v_cmp_le_u64_e64 s[0:1], s[0:1], v[234:235]
	s_and_saveexec_b64 s[14:15], s[0:1]
	s_xor_b64 s[0:1], exec, s[14:15]
; %bb.9:
	s_mov_b32 s14, 0xf0f0f10
	v_mul_hi_u32 v1, v0, s14
	v_mul_u32_u24_e32 v1, 17, v1
	v_sub_u32_e32 v248, v0, v1
	v_add_u32_e32 v249, 17, v248
	v_add_u32_e32 v255, 34, v248
	v_add_u32_e32 v104, 51, v248
	v_add_u32_e32 v105, 0x44, v248
                                        ; implicit-def: $vgpr0
                                        ; implicit-def: $vgpr6_vgpr7
; %bb.10:
	s_or_saveexec_b64 s[0:1], s[0:1]
                                        ; implicit-def: $vgpr102_vgpr103
                                        ; implicit-def: $vgpr94_vgpr95
                                        ; implicit-def: $vgpr86_vgpr87
                                        ; implicit-def: $vgpr82_vgpr83
                                        ; implicit-def: $vgpr90_vgpr91
                                        ; implicit-def: $vgpr98_vgpr99
                                        ; implicit-def: $vgpr72_vgpr73
                                        ; implicit-def: $vgpr136_vgpr137
                                        ; implicit-def: $vgpr128_vgpr129
                                        ; implicit-def: $vgpr120_vgpr121
                                        ; implicit-def: $vgpr116_vgpr117
                                        ; implicit-def: $vgpr124_vgpr125
                                        ; implicit-def: $vgpr132_vgpr133
                                        ; implicit-def: $vgpr112_vgpr113
                                        ; implicit-def: $vgpr170_vgpr171
                                        ; implicit-def: $vgpr166_vgpr167
                                        ; implicit-def: $vgpr154_vgpr155
                                        ; implicit-def: $vgpr150_vgpr151
                                        ; implicit-def: $vgpr158_vgpr159
                                        ; implicit-def: $vgpr162_vgpr163
                                        ; implicit-def: $vgpr146_vgpr147
                                        ; implicit-def: $vgpr198_vgpr199
                                        ; implicit-def: $vgpr190_vgpr191
                                        ; implicit-def: $vgpr182_vgpr183
                                        ; implicit-def: $vgpr178_vgpr179
                                        ; implicit-def: $vgpr186_vgpr187
                                        ; implicit-def: $vgpr194_vgpr195
                                        ; implicit-def: $vgpr174_vgpr175
                                        ; implicit-def: $vgpr218_vgpr219
                                        ; implicit-def: $vgpr210_vgpr211
                                        ; implicit-def: $vgpr206_vgpr207
                                        ; implicit-def: $vgpr38_vgpr39
                                        ; implicit-def: $vgpr46_vgpr47
                                        ; implicit-def: $vgpr34_vgpr35
                                        ; implicit-def: $vgpr2_vgpr3
	s_xor_b64 exec, exec, s[0:1]
	s_cbranch_execz .LBB0_12
; %bb.11:
	s_add_u32 s10, s12, s10
	s_addc_u32 s11, s13, s11
	s_load_dwordx2 s[10:11], s[10:11], 0x0
	s_mov_b32 s12, 0xf0f0f10
	s_waitcnt lgkmcnt(0)
	v_mul_lo_u32 v1, s11, v234
	v_mul_lo_u32 v5, s10, v235
	v_mad_u64_u32 v[2:3], s[10:11], s10, v234, 0
	v_add3_u32 v3, v3, v5, v1
	v_mul_hi_u32 v1, v0, s12
	v_mul_u32_u24_e32 v1, 17, v1
	v_sub_u32_e32 v248, v0, v1
	v_mad_u64_u32 v[0:1], s[10:11], s18, v248, 0
	v_mov_b32_e32 v8, v1
	v_mad_u64_u32 v[8:9], s[10:11], s19, v248, v[8:9]
	v_lshl_add_u64 v[2:3], v[2:3], 4, s[4:5]
	v_mov_b32_e32 v1, v8
	v_lshl_add_u64 v[6:7], v[6:7], 4, v[2:3]
	v_add_u32_e32 v3, 0x55, v248
	v_lshl_add_u64 v[8:9], v[0:1], 4, v[6:7]
	v_mad_u64_u32 v[0:1], s[4:5], s18, v3, 0
	v_mov_b32_e32 v2, v1
	v_mad_u64_u32 v[2:3], s[4:5], s19, v3, v[2:3]
	v_mov_b32_e32 v1, v2
	v_add_u32_e32 v5, 0xaa, v248
	v_lshl_add_u64 v[10:11], v[0:1], 4, v[6:7]
	global_load_dwordx4 v[0:3], v[8:9], off
	global_load_dwordx4 v[32:35], v[10:11], off
	v_mad_u64_u32 v[8:9], s[4:5], s18, v5, 0
	v_mov_b32_e32 v10, v9
	v_mad_u64_u32 v[10:11], s[4:5], s19, v5, v[10:11]
	v_add_u32_e32 v5, 0xff, v248
	v_mov_b32_e32 v9, v10
	v_mad_u64_u32 v[10:11], s[4:5], s18, v5, 0
	v_mov_b32_e32 v12, v11
	v_mad_u64_u32 v[12:13], s[4:5], s19, v5, v[12:13]
	v_lshl_add_u64 v[8:9], v[8:9], 4, v[6:7]
	v_mov_b32_e32 v11, v12
	v_add_u32_e32 v5, 0x154, v248
	v_lshl_add_u64 v[10:11], v[10:11], 4, v[6:7]
	global_load_dwordx4 v[44:47], v[8:9], off
	global_load_dwordx4 v[36:39], v[10:11], off
	v_mad_u64_u32 v[8:9], s[4:5], s18, v5, 0
	v_mov_b32_e32 v10, v9
	v_mad_u64_u32 v[10:11], s[4:5], s19, v5, v[10:11]
	v_add_u32_e32 v5, 0x1a9, v248
	v_mov_b32_e32 v9, v10
	v_mad_u64_u32 v[10:11], s[4:5], s18, v5, 0
	v_mov_b32_e32 v12, v11
	v_mad_u64_u32 v[12:13], s[4:5], s19, v5, v[12:13]
	v_add_u32_e32 v5, 0x1fe, v248
	v_mov_b32_e32 v11, v12
	;; [unrolled: 5-line block ×15, first 2 shown]
	v_mad_u64_u32 v[50:51], s[4:5], s18, v5, 0
	v_mov_b32_e32 v52, v51
	v_mad_u64_u32 v[52:53], s[4:5], s19, v5, v[52:53]
	v_or_b32_e32 v5, 0x220, v248
	v_mov_b32_e32 v51, v52
	v_mad_u64_u32 v[52:53], s[4:5], s18, v5, 0
	v_mov_b32_e32 v54, v53
	v_mad_u64_u32 v[54:55], s[4:5], s19, v5, v[54:55]
	v_add_u32_e32 v104, 51, v248
	v_mov_b32_e32 v53, v54
	v_mad_u64_u32 v[54:55], s[4:5], s18, v104, 0
	v_mov_b32_e32 v56, v55
	v_mad_u64_u32 v[56:57], s[4:5], s19, v104, v[56:57]
	v_add_u32_e32 v5, 0x88, v248
	;; [unrolled: 5-line block ×14, first 2 shown]
	v_mov_b32_e32 v79, v80
	v_mad_u64_u32 v[80:81], s[4:5], s18, v5, 0
	v_mov_b32_e32 v82, v81
	v_lshl_add_u64 v[8:9], v[8:9], 4, v[6:7]
	v_mad_u64_u32 v[82:83], s[4:5], s19, v5, v[82:83]
	v_lshl_add_u64 v[10:11], v[10:11], 4, v[6:7]
	v_mov_b32_e32 v81, v82
	global_load_dwordx4 v[204:207], v[8:9], off
	global_load_dwordx4 v[208:211], v[10:11], off
	v_lshl_add_u64 v[8:9], v[12:13], 4, v[6:7]
	v_lshl_add_u64 v[10:11], v[14:15], 4, v[6:7]
	v_lshl_add_u64 v[12:13], v[16:17], 4, v[6:7]
	v_lshl_add_u64 v[14:15], v[18:19], 4, v[6:7]
	v_lshl_add_u64 v[16:17], v[20:21], 4, v[6:7]
	v_lshl_add_u64 v[18:19], v[22:23], 4, v[6:7]
	v_lshl_add_u64 v[20:21], v[24:25], 4, v[6:7]
	v_lshl_add_u64 v[22:23], v[26:27], 4, v[6:7]
	v_lshl_add_u64 v[24:25], v[28:29], 4, v[6:7]
	v_lshl_add_u64 v[26:27], v[30:31], 4, v[6:7]
	v_lshl_add_u64 v[28:29], v[40:41], 4, v[6:7]
	v_lshl_add_u64 v[30:31], v[42:43], 4, v[6:7]
	v_lshl_add_u64 v[40:41], v[48:49], 4, v[6:7]
	v_lshl_add_u64 v[42:43], v[50:51], 4, v[6:7]
	v_lshl_add_u64 v[48:49], v[52:53], 4, v[6:7]
	v_lshl_add_u64 v[50:51], v[54:55], 4, v[6:7]
	v_lshl_add_u64 v[52:53], v[56:57], 4, v[6:7]
	v_lshl_add_u64 v[54:55], v[58:59], 4, v[6:7]
	v_lshl_add_u64 v[56:57], v[60:61], 4, v[6:7]
	v_lshl_add_u64 v[58:59], v[62:63], 4, v[6:7]
	v_lshl_add_u64 v[60:61], v[64:65], 4, v[6:7]
	v_lshl_add_u64 v[62:63], v[66:67], 4, v[6:7]
	v_lshl_add_u64 v[64:65], v[68:69], 4, v[6:7]
	v_lshl_add_u64 v[66:67], v[70:71], 4, v[6:7]
	v_lshl_add_u64 v[68:69], v[72:73], 4, v[6:7]
	v_lshl_add_u64 v[74:75], v[74:75], 4, v[6:7]
	v_lshl_add_u64 v[76:77], v[76:77], 4, v[6:7]
	v_lshl_add_u64 v[78:79], v[78:79], 4, v[6:7]
	v_lshl_add_u64 v[6:7], v[80:81], 4, v[6:7]
	global_load_dwordx4 v[216:219], v[8:9], off
	global_load_dwordx4 v[172:175], v[10:11], off
	;; [unrolled: 1-line block ×9, first 2 shown]
                                        ; kill: killed $vgpr18_vgpr19
                                        ; kill: killed $vgpr10_vgpr11
                                        ; kill: killed $vgpr16_vgpr17
                                        ; kill: killed $vgpr8_vgpr9
                                        ; kill: killed $vgpr22_vgpr23
                                        ; kill: killed $vgpr14_vgpr15
                                        ; kill: killed $vgpr24_vgpr25
                                        ; kill: killed $vgpr20_vgpr21
                                        ; kill: killed $vgpr12_vgpr13
	global_load_dwordx4 v[160:163], v[26:27], off
	global_load_dwordx4 v[156:159], v[28:29], off
	global_load_dwordx4 v[148:151], v[30:31], off
	global_load_dwordx4 v[152:155], v[40:41], off
                                        ; kill: killed $vgpr28_vgpr29
                                        ; kill: killed $vgpr26_vgpr27
                                        ; kill: killed $vgpr40_vgpr41
                                        ; kill: killed $vgpr30_vgpr31
	global_load_dwordx4 v[164:167], v[42:43], off
	global_load_dwordx4 v[168:171], v[48:49], off
                                        ; kill: killed $vgpr42_vgpr43
                                        ; kill: killed $vgpr48_vgpr49
	global_load_dwordx4 v[110:113], v[50:51], off
	global_load_dwordx4 v[130:133], v[52:53], off
	;; [unrolled: 1-line block ×14, first 2 shown]
.LBB0_12:
	s_or_b64 exec, exec, s[0:1]
	s_mov_b32 s0, 0xaaaaaaab
	v_mul_hi_u32 v5, v4, s0
	v_lshrrev_b32_e32 v5, 1, v5
	v_lshl_add_u32 v5, v5, 1, v5
	v_sub_u32_e32 v24, v4, v5
	s_waitcnt vmcnt(28)
	v_add_f64 v[4:5], v[216:217], v[32:33]
	v_add_f64 v[8:9], v[208:209], v[44:45]
	;; [unrolled: 1-line block ×4, first 2 shown]
	v_add_f64 v[10:11], v[46:47], -v[210:211]
	v_add_f64 v[14:15], v[206:207], -v[38:39]
	;; [unrolled: 1-line block ×5, first 2 shown]
	v_add_f64 v[12:13], v[12:13], v[16:17]
	v_add_f64 v[6:7], v[34:35], -v[218:219]
	v_add_f64 v[20:21], v[14:15], v[10:11]
	v_add_f64 v[0:1], v[0:1], v[12:13]
	s_mov_b32 s4, 0xaaaaaaaa
	s_mov_b32 s14, 0x37e14327
	;; [unrolled: 1-line block ×3, first 2 shown]
	v_add_f64 v[16:17], v[14:15], -v[10:11]
	v_add_f64 v[14:15], v[6:7], -v[14:15]
	;; [unrolled: 1-line block ×3, first 2 shown]
	v_add_f64 v[6:7], v[20:21], v[6:7]
	s_mov_b32 s5, 0xbff2aaaa
	v_mov_b64_e32 v[20:21], v[0:1]
	s_mov_b32 s15, 0x3fe948f6
	s_mov_b32 s11, 0x3fac98ee
	;; [unrolled: 1-line block ×5, first 2 shown]
	v_fmac_f64_e32 v[20:21], s[4:5], v[12:13]
	v_mul_f64 v[4:5], v[4:5], s[14:15]
	s_mov_b32 s13, 0x3fe77f67
	v_mul_f64 v[12:13], v[8:9], s[10:11]
	s_mov_b32 s19, 0xbfe77f67
	s_mov_b32 s18, s12
	;; [unrolled: 1-line block ×5, first 2 shown]
	v_fma_f64 v[12:13], v[18:19], s[12:13], -v[12:13]
	v_fma_f64 v[18:19], v[18:19], s[18:19], -v[4:5]
	v_fmac_f64_e32 v[4:5], s[10:11], v[8:9]
	v_mul_f64 v[16:17], v[16:17], s[24:25]
	s_mov_b32 s21, 0xbfd5d0dc
	v_mul_f64 v[8:9], v[10:11], s[22:23]
	s_mov_b32 s29, 0x3fd5d0dc
	s_mov_b32 s28, s20
	v_mul_u32_u24_e32 v24, 0x253, v24
	s_mov_b32 s26, 0x37c3f68c
	v_fma_f64 v[22:23], v[10:11], s[22:23], -v[16:17]
	v_fmac_f64_e32 v[16:17], s[20:21], v[14:15]
	v_fma_f64 v[8:9], v[14:15], s[28:29], -v[8:9]
	s_mov_b32 s27, 0xbfdc38aa
	v_lshlrev_b32_e32 v26, 3, v24
	v_add_f64 v[4:5], v[4:5], v[20:21]
	v_add_f64 v[12:13], v[12:13], v[20:21]
	;; [unrolled: 1-line block ×3, first 2 shown]
	v_fmac_f64_e32 v[16:17], s[26:27], v[6:7]
	v_fmac_f64_e32 v[22:23], s[26:27], v[6:7]
	;; [unrolled: 1-line block ×3, first 2 shown]
	v_add_u32_e32 v240, 0, v26
	v_add_f64 v[18:19], v[16:17], v[4:5]
	v_add_f64 v[10:11], v[12:13], -v[22:23]
	v_add_f64 v[6:7], v[22:23], v[12:13]
	v_add_f64 v[12:13], v[8:9], v[14:15]
	v_add_f64 v[8:9], v[14:15], -v[8:9]
	v_add_f64 v[4:5], v[4:5], -v[16:17]
	s_waitcnt vmcnt(21)
	v_add_f64 v[14:15], v[196:197], v[192:193]
	v_mad_u32_u24 v74, v248, 56, v240
	v_add_f64 v[16:17], v[188:189], v[184:185]
	ds_write2_b64 v74, v[12:13], v[10:11] offset0:2 offset1:3
	v_add_f64 v[12:13], v[180:181], v[176:177]
	ds_write2_b64 v74, v[6:7], v[8:9] offset0:4 offset1:5
	v_add_f64 v[6:7], v[16:17], v[14:15]
	v_add_f64 v[10:11], v[186:187], -v[190:191]
	v_add_f64 v[8:9], v[16:17], -v[14:15]
	;; [unrolled: 1-line block ×4, first 2 shown]
	v_add_f64 v[6:7], v[12:13], v[6:7]
	v_add_f64 v[12:13], v[182:183], -v[178:179]
	ds_write2_b64 v74, v[0:1], v[18:19] offset1:1
	v_add_f64 v[0:1], v[194:195], -v[198:199]
	v_add_f64 v[18:19], v[12:13], v[10:11]
	v_add_f64 v[20:21], v[12:13], -v[10:11]
	v_add_f64 v[12:13], v[0:1], -v[12:13]
	;; [unrolled: 1-line block ×3, first 2 shown]
	v_add_f64 v[0:1], v[18:19], v[0:1]
	v_add_f64 v[18:19], v[172:173], v[6:7]
	v_mov_b64_e32 v[22:23], v[18:19]
	v_fmac_f64_e32 v[22:23], s[4:5], v[6:7]
	v_mul_f64 v[6:7], v[14:15], s[14:15]
	v_mul_f64 v[14:15], v[16:17], s[10:11]
	v_fma_f64 v[14:15], v[8:9], s[12:13], -v[14:15]
	v_fma_f64 v[8:9], v[8:9], s[18:19], -v[6:7]
	v_fmac_f64_e32 v[6:7], s[10:11], v[16:17]
	v_mul_f64 v[16:17], v[20:21], s[24:25]
	v_mul_f64 v[20:21], v[10:11], s[22:23]
	v_fma_f64 v[10:11], v[10:11], s[22:23], -v[16:17]
	v_fmac_f64_e32 v[16:17], s[20:21], v[12:13]
	v_fma_f64 v[12:13], v[12:13], s[28:29], -v[20:21]
	v_add_f64 v[14:15], v[14:15], v[22:23]
	v_add_f64 v[8:9], v[8:9], v[22:23]
	v_fmac_f64_e32 v[10:11], s[26:27], v[0:1]
	v_fmac_f64_e32 v[12:13], s[26:27], v[0:1]
	;; [unrolled: 1-line block ×3, first 2 shown]
	v_add_f64 v[0:1], v[14:15], -v[10:11]
	v_add_f64 v[10:11], v[10:11], v[14:15]
	v_add_f64 v[14:15], v[12:13], v[8:9]
	v_mad_i32_i24 v75, v249, 56, v240
	v_add_f64 v[8:9], v[8:9], -v[12:13]
	ds_write_b64 v74, v[4:5] offset:48
	s_waitcnt vmcnt(14)
	v_add_f64 v[4:5], v[168:169], v[160:161]
	ds_write2_b64 v75, v[14:15], v[0:1] offset0:2 offset1:3
	v_add_f64 v[0:1], v[164:165], v[156:157]
	v_add_f64 v[6:7], v[6:7], v[22:23]
	;; [unrolled: 1-line block ×3, first 2 shown]
	ds_write2_b64 v75, v[10:11], v[8:9] offset0:4 offset1:5
	v_add_f64 v[8:9], v[0:1], v[4:5]
	v_add_f64 v[12:13], v[16:17], v[6:7]
	v_add_f64 v[6:7], v[6:7], -v[16:17]
	v_add_f64 v[10:11], v[0:1], -v[4:5]
	v_add_f64 v[4:5], v[4:5], -v[14:15]
	v_add_f64 v[0:1], v[14:15], -v[0:1]
	v_add_f64 v[8:9], v[14:15], v[8:9]
	v_add_f64 v[14:15], v[158:159], -v[166:167]
	v_add_f64 v[16:17], v[154:155], -v[150:151]
	ds_write2_b64 v75, v[18:19], v[12:13] offset1:1
	v_add_f64 v[12:13], v[162:163], -v[170:171]
	v_add_f64 v[18:19], v[16:17], v[14:15]
	v_add_f64 v[20:21], v[16:17], -v[14:15]
	v_add_f64 v[16:17], v[12:13], -v[16:17]
	;; [unrolled: 1-line block ×3, first 2 shown]
	v_add_f64 v[12:13], v[18:19], v[12:13]
	v_add_f64 v[18:19], v[144:145], v[8:9]
	v_mov_b64_e32 v[22:23], v[18:19]
	v_fmac_f64_e32 v[22:23], s[4:5], v[8:9]
	v_mul_f64 v[4:5], v[4:5], s[14:15]
	v_mul_f64 v[8:9], v[0:1], s[10:11]
	v_fma_f64 v[8:9], v[10:11], s[12:13], -v[8:9]
	v_fma_f64 v[10:11], v[10:11], s[18:19], -v[4:5]
	v_fmac_f64_e32 v[4:5], s[10:11], v[0:1]
	v_mul_f64 v[0:1], v[20:21], s[24:25]
	v_mul_f64 v[20:21], v[14:15], s[22:23]
	v_fma_f64 v[14:15], v[14:15], s[22:23], -v[0:1]
	v_fmac_f64_e32 v[0:1], s[20:21], v[16:17]
	v_fma_f64 v[16:17], v[16:17], s[28:29], -v[20:21]
	v_add_f64 v[8:9], v[8:9], v[22:23]
	v_add_f64 v[10:11], v[10:11], v[22:23]
	v_fmac_f64_e32 v[14:15], s[26:27], v[12:13]
	v_fmac_f64_e32 v[16:17], s[26:27], v[12:13]
	v_add_f64 v[4:5], v[4:5], v[22:23]
	v_fmac_f64_e32 v[0:1], s[26:27], v[12:13]
	v_add_f64 v[12:13], v[8:9], -v[14:15]
	v_add_f64 v[8:9], v[14:15], v[8:9]
	v_add_f64 v[14:15], v[16:17], v[10:11]
	v_mad_i32_i24 v172, v255, 56, v240
	v_add_f64 v[10:11], v[10:11], -v[16:17]
	v_add_f64 v[16:17], v[0:1], v[4:5]
	v_add_f64 v[0:1], v[4:5], -v[0:1]
	ds_write_b64 v75, v[6:7] offset:48
	s_waitcnt vmcnt(7)
	v_add_f64 v[4:5], v[134:135], v[130:131]
	ds_write2_b64 v172, v[14:15], v[12:13] offset0:2 offset1:3
	v_add_f64 v[12:13], v[126:127], v[122:123]
	v_add_f64 v[14:15], v[118:119], v[114:115]
	ds_write2_b64 v172, v[8:9], v[10:11] offset0:4 offset1:5
	v_add_f64 v[8:9], v[12:13], v[4:5]
	ds_write2_b64 v172, v[18:19], v[16:17] offset1:1
	v_add_f64 v[10:11], v[12:13], -v[4:5]
	v_add_f64 v[4:5], v[4:5], -v[14:15]
	v_add_f64 v[12:13], v[14:15], -v[12:13]
	v_add_f64 v[8:9], v[14:15], v[8:9]
	v_add_f64 v[14:15], v[124:125], -v[128:129]
	v_add_f64 v[16:17], v[120:121], -v[116:117]
	v_add_f64 v[6:7], v[132:133], -v[136:137]
	v_add_f64 v[18:19], v[16:17], v[14:15]
	;; [unrolled: 4-line block ×3, first 2 shown]
	v_add_f64 v[18:19], v[110:111], v[8:9]
	v_mov_b64_e32 v[22:23], v[18:19]
	ds_write_b64 v172, v[0:1] offset:48
	v_mul_f64 v[0:1], v[4:5], s[14:15]
	v_fmac_f64_e32 v[22:23], s[4:5], v[8:9]
	v_fma_f64 v[8:9], v[10:11], s[18:19], -v[0:1]
	v_fmac_f64_e32 v[0:1], s[10:11], v[12:13]
	v_mul_f64 v[12:13], v[12:13], s[10:11]
	v_mul_f64 v[4:5], v[20:21], s[24:25]
	v_fma_f64 v[10:11], v[10:11], s[12:13], -v[12:13]
	v_mul_f64 v[12:13], v[14:15], s[22:23]
	v_fma_f64 v[20:21], v[14:15], s[22:23], -v[4:5]
	v_fma_f64 v[12:13], v[16:17], s[28:29], -v[12:13]
	v_fmac_f64_e32 v[4:5], s[20:21], v[16:17]
	v_add_f64 v[10:11], v[10:11], v[22:23]
	v_add_f64 v[8:9], v[8:9], v[22:23]
	v_fmac_f64_e32 v[20:21], s[26:27], v[6:7]
	v_fmac_f64_e32 v[12:13], s[26:27], v[6:7]
	v_add_f64 v[0:1], v[0:1], v[22:23]
	v_fmac_f64_e32 v[4:5], s[26:27], v[6:7]
	v_mad_i32_i24 v173, v104, 56, v240
	v_add_f64 v[6:7], v[10:11], -v[20:21]
	v_add_f64 v[14:15], v[12:13], v[8:9]
	v_add_f64 v[24:25], v[4:5], v[0:1]
	;; [unrolled: 1-line block ×3, first 2 shown]
	v_add_f64 v[8:9], v[8:9], -v[12:13]
	v_add_f64 v[0:1], v[0:1], -v[4:5]
	s_waitcnt vmcnt(0)
	v_add_f64 v[4:5], v[100:101], v[96:97]
	ds_write2_b64 v173, v[14:15], v[6:7] offset0:2 offset1:3
	v_add_f64 v[6:7], v[92:93], v[88:89]
	v_add_f64 v[12:13], v[84:85], v[80:81]
	ds_write2_b64 v173, v[10:11], v[8:9] offset0:4 offset1:5
	v_add_f64 v[8:9], v[6:7], v[4:5]
	v_add_f64 v[14:15], v[90:91], -v[94:95]
	v_add_f64 v[16:17], v[86:87], -v[82:83]
	ds_write2_b64 v173, v[18:19], v[24:25] offset1:1
	v_add_f64 v[10:11], v[6:7], -v[4:5]
	v_add_f64 v[4:5], v[4:5], -v[12:13]
	;; [unrolled: 1-line block ×3, first 2 shown]
	v_add_f64 v[8:9], v[12:13], v[8:9]
	v_add_f64 v[12:13], v[98:99], -v[102:103]
	v_add_f64 v[18:19], v[16:17], v[14:15]
	v_add_f64 v[20:21], v[16:17], -v[14:15]
	v_add_f64 v[16:17], v[12:13], -v[16:17]
	;; [unrolled: 1-line block ×3, first 2 shown]
	v_add_f64 v[12:13], v[18:19], v[12:13]
	v_add_f64 v[18:19], v[70:71], v[8:9]
	v_mov_b64_e32 v[22:23], v[18:19]
	ds_write_b64 v173, v[0:1] offset:48
	v_mul_f64 v[0:1], v[4:5], s[14:15]
	v_fmac_f64_e32 v[22:23], s[4:5], v[8:9]
	v_mul_f64 v[4:5], v[20:21], s[24:25]
	v_fma_f64 v[8:9], v[10:11], s[18:19], -v[0:1]
	v_fmac_f64_e32 v[0:1], s[10:11], v[6:7]
	v_mul_f64 v[6:7], v[6:7], s[10:11]
	v_fma_f64 v[20:21], v[14:15], s[22:23], -v[4:5]
	v_fmac_f64_e32 v[4:5], s[20:21], v[16:17]
	v_fma_f64 v[6:7], v[10:11], s[12:13], -v[6:7]
	v_mul_f64 v[10:11], v[14:15], s[22:23]
	v_add_f64 v[0:1], v[0:1], v[22:23]
	v_fmac_f64_e32 v[4:5], s[26:27], v[12:13]
	v_fma_f64 v[10:11], v[16:17], s[28:29], -v[10:11]
	v_add_f64 v[24:25], v[4:5], v[0:1]
	v_add_f64 v[6:7], v[6:7], v[22:23]
	;; [unrolled: 1-line block ×3, first 2 shown]
	v_fmac_f64_e32 v[20:21], s[26:27], v[12:13]
	v_fmac_f64_e32 v[10:11], s[26:27], v[12:13]
	v_add_f64 v[4:5], v[0:1], -v[4:5]
	v_lshlrev_b32_e32 v0, 3, v248
	v_mad_i32_i24 v241, v105, 56, v240
	v_add_f64 v[12:13], v[6:7], -v[20:21]
	v_add_f64 v[14:15], v[10:11], v[8:9]
	v_add_u32_e32 v1, v240, v0
	v_add3_u32 v254, 0, v0, v26
	v_lshl_add_u32 v0, v249, 3, v240
	v_accvgpr_write_b32 a0, v104
	v_accvgpr_write_b32 a1, v105
	ds_write2_b64 v241, v[18:19], v[24:25] offset1:1
	v_add_f64 v[6:7], v[20:21], v[6:7]
	v_add_f64 v[8:9], v[8:9], -v[10:11]
	s_load_dwordx2 s[2:3], s[2:3], 0x0
	ds_write2_b64 v241, v[14:15], v[12:13] offset0:2 offset1:3
	ds_write2_b64 v241, v[6:7], v[8:9] offset0:4 offset1:5
	ds_write_b64 v241, v[4:5] offset:48
	s_waitcnt lgkmcnt(0)
	; wave barrier
	s_waitcnt lgkmcnt(0)
	v_add_u32_e32 v245, 0x400, v254
	v_add_u32_e32 v244, 0x800, v254
	;; [unrolled: 1-line block ×3, first 2 shown]
	ds_read_b64 v[238:239], v1
	ds_read_b64 v[236:237], v0
	ds_read2_b64 v[228:231], v254 offset0:35 offset1:52
	ds_read2_b64 v[224:227], v254 offset0:70 offset1:87
	ds_read2_b64 v[220:223], v254 offset0:105 offset1:122
	ds_read2_b64 v[212:215], v254 offset0:140 offset1:157
	ds_read2_b64 v[200:203], v254 offset0:175 offset1:192
	ds_read2_b64 v[142:145], v254 offset0:210 offset1:227
	ds_read2_b64 v[138:141], v245 offset0:117 offset1:134
	ds_read2_b64 v[108:111], v244 offset0:24 offset1:41
	ds_read2_b64 v[104:107], v244 offset0:59 offset1:76
	ds_read2_b64 v[76:79], v244 offset0:94 offset1:111
	ds_read2_b64 v[68:71], v244 offset0:129 offset1:146
	ds_read2_b64 v[64:67], v244 offset0:164 offset1:181
	ds_read2_b64 v[60:63], v244 offset0:199 offset1:216
	ds_read2_b64 v[56:59], v244 offset0:234 offset1:251
	ds_read2_b64 v[52:55], v246 offset0:13 offset1:30
	ds_read2_b64 v[40:43], v246 offset0:48 offset1:65
	v_accvgpr_write_b32 a4, v26
	v_accvgpr_write_b32 a2, v1
	;; [unrolled: 1-line block ×3, first 2 shown]
	v_cmp_eq_u32_e64 s[0:1], 0, v248
                                        ; implicit-def: $vgpr242_vgpr243
                                        ; implicit-def: $vgpr10_vgpr11
                                        ; implicit-def: $vgpr14_vgpr15
                                        ; implicit-def: $vgpr18_vgpr19
                                        ; implicit-def: $vgpr22_vgpr23
                                        ; implicit-def: $vgpr26_vgpr27
                                        ; implicit-def: $vgpr30_vgpr31
                                        ; implicit-def: $vgpr50_vgpr51
	s_and_saveexec_b64 s[30:31], s[0:1]
	s_cbranch_execz .LBB0_14
; %bb.13:
	v_add_u32_e32 v0, 0x400, v240
	ds_read2_b64 v[4:7], v240 offset0:34 offset1:69
	ds_read2_b64 v[48:51], v240 offset0:104 offset1:139
	;; [unrolled: 1-line block ×4, first 2 shown]
	v_add_u32_e32 v0, 0x800, v240
	ds_read2_b64 v[20:23], v0 offset0:58 offset1:93
	ds_read2_b64 v[16:19], v0 offset0:128 offset1:163
	;; [unrolled: 1-line block ×3, first 2 shown]
	v_add_u32_e32 v0, 0x1000, v240
	ds_read2_b64 v[8:11], v0 offset0:12 offset1:47
	ds_read_b64 v[242:243], v240 offset:4752
.LBB0_14:
	s_or_b64 exec, exec, s[30:31]
	v_add_f64 v[0:1], v[218:219], v[34:35]
	v_add_f64 v[34:35], v[210:211], v[46:47]
	;; [unrolled: 1-line block ×4, first 2 shown]
	v_add_f64 v[44:45], v[44:45], -v[208:209]
	v_add_f64 v[36:37], v[204:205], -v[36:37]
	v_add_f64 v[204:205], v[34:35], -v[0:1]
	v_add_f64 v[0:1], v[0:1], -v[38:39]
	v_add_f64 v[34:35], v[38:39], -v[34:35]
	v_add_f64 v[38:39], v[38:39], v[46:47]
	v_add_f64 v[32:33], v[32:33], -v[216:217]
	v_add_f64 v[206:207], v[36:37], v[44:45]
	v_add_f64 v[208:209], v[36:37], -v[44:45]
	;; [unrolled: 2-line block ×3, first 2 shown]
	v_add_f64 v[44:45], v[44:45], -v[32:33]
	v_add_f64 v[32:33], v[206:207], v[32:33]
	v_mul_f64 v[0:1], v[0:1], s[14:15]
	v_mul_f64 v[46:47], v[34:35], s[10:11]
	;; [unrolled: 1-line block ×3, first 2 shown]
	v_mov_b64_e32 v[210:211], v[2:3]
	v_fmac_f64_e32 v[210:211], s[4:5], v[38:39]
	v_fma_f64 v[38:39], v[204:205], s[12:13], -v[46:47]
	v_fma_f64 v[46:47], v[204:205], s[18:19], -v[0:1]
	v_fmac_f64_e32 v[0:1], s[10:11], v[34:35]
	v_fma_f64 v[34:35], v[44:45], s[22:23], -v[206:207]
	v_fmac_f64_e32 v[206:207], s[20:21], v[36:37]
	v_mul_f64 v[208:209], v[44:45], s[22:23]
	v_add_f64 v[0:1], v[0:1], v[210:211]
	v_add_f64 v[38:39], v[38:39], v[210:211]
	v_fmac_f64_e32 v[206:207], s[26:27], v[32:33]
	v_fmac_f64_e32 v[34:35], s[26:27], v[32:33]
	v_fma_f64 v[36:37], v[36:37], s[28:29], -v[208:209]
	v_add_f64 v[44:45], v[46:47], v[210:211]
	v_add_f64 v[46:47], v[0:1], -v[206:207]
	v_add_f64 v[204:205], v[34:35], v[38:39]
	v_add_f64 v[34:35], v[38:39], -v[34:35]
	v_add_f64 v[38:39], v[206:207], v[0:1]
	v_add_f64 v[0:1], v[198:199], v[194:195]
	;; [unrolled: 1-line block ×3, first 2 shown]
	v_fmac_f64_e32 v[36:37], s[26:27], v[32:33]
	v_add_f64 v[178:179], v[182:183], v[178:179]
	v_add_f64 v[176:177], v[180:181], -v[176:177]
	v_add_f64 v[180:181], v[186:187], v[0:1]
	v_add_f64 v[32:33], v[44:45], -v[36:37]
	;; [unrolled: 2-line block ×3, first 2 shown]
	v_add_f64 v[184:185], v[184:185], -v[188:189]
	v_add_f64 v[182:183], v[186:187], -v[0:1]
	v_add_f64 v[0:1], v[0:1], -v[178:179]
	v_add_f64 v[186:187], v[178:179], -v[186:187]
	v_add_f64 v[178:179], v[178:179], v[180:181]
	v_add_f64 v[188:189], v[176:177], v[184:185]
	v_add_f64 v[190:191], v[176:177], -v[184:185]
	v_add_f64 v[184:185], v[184:185], -v[44:45]
	v_add_f64 v[174:175], v[174:175], v[178:179]
	v_add_f64 v[176:177], v[44:45], -v[176:177]
	v_add_f64 v[44:45], v[188:189], v[44:45]
	v_mul_f64 v[0:1], v[0:1], s[14:15]
	v_mul_f64 v[180:181], v[186:187], s[10:11]
	v_mul_f64 v[188:189], v[190:191], s[24:25]
	v_mul_f64 v[190:191], v[184:185], s[22:23]
	v_mov_b64_e32 v[192:193], v[174:175]
	v_fmac_f64_e32 v[192:193], s[4:5], v[178:179]
	v_fma_f64 v[178:179], v[182:183], s[12:13], -v[180:181]
	v_fma_f64 v[180:181], v[182:183], s[18:19], -v[0:1]
	v_fmac_f64_e32 v[0:1], s[10:11], v[186:187]
	v_fma_f64 v[182:183], v[184:185], s[22:23], -v[188:189]
	v_fmac_f64_e32 v[188:189], s[20:21], v[176:177]
	v_fma_f64 v[176:177], v[176:177], s[28:29], -v[190:191]
	v_add_f64 v[0:1], v[0:1], v[192:193]
	v_add_f64 v[180:181], v[180:181], v[192:193]
	v_fmac_f64_e32 v[188:189], s[26:27], v[44:45]
	v_fmac_f64_e32 v[176:177], s[26:27], v[44:45]
	v_fmac_f64_e32 v[182:183], s[26:27], v[44:45]
	v_add_f64 v[44:45], v[0:1], -v[188:189]
	v_add_f64 v[184:185], v[180:181], -v[176:177]
	v_add_f64 v[176:177], v[176:177], v[180:181]
	v_add_f64 v[180:181], v[188:189], v[0:1]
	v_add_f64 v[0:1], v[170:171], v[162:163]
	v_add_f64 v[158:159], v[166:167], v[158:159]
	v_add_f64 v[150:151], v[154:155], v[150:151]
	v_add_f64 v[148:149], v[152:153], -v[148:149]
	v_add_f64 v[152:153], v[158:159], v[0:1]
	v_add_f64 v[160:161], v[160:161], -v[168:169]
	v_add_f64 v[156:157], v[156:157], -v[164:165]
	v_add_f64 v[154:155], v[158:159], -v[0:1]
	v_add_f64 v[0:1], v[0:1], -v[150:151]
	v_add_f64 v[158:159], v[150:151], -v[158:159]
	v_add_f64 v[150:151], v[150:151], v[152:153]
	v_add_f64 v[162:163], v[148:149], v[156:157]
	v_add_f64 v[164:165], v[148:149], -v[156:157]
	v_add_f64 v[156:157], v[156:157], -v[160:161]
	v_add_f64 v[146:147], v[146:147], v[150:151]
	v_add_f64 v[148:149], v[160:161], -v[148:149]
	v_add_f64 v[152:153], v[162:163], v[160:161]
	v_mul_f64 v[0:1], v[0:1], s[14:15]
	v_mul_f64 v[160:161], v[158:159], s[10:11]
	v_mul_f64 v[162:163], v[164:165], s[24:25]
	v_mul_f64 v[164:165], v[156:157], s[22:23]
	v_mov_b64_e32 v[166:167], v[146:147]
	v_fmac_f64_e32 v[166:167], s[4:5], v[150:151]
	v_fma_f64 v[150:151], v[154:155], s[12:13], -v[160:161]
	v_fma_f64 v[154:155], v[154:155], s[18:19], -v[0:1]
	v_fmac_f64_e32 v[0:1], s[10:11], v[158:159]
	v_fma_f64 v[156:157], v[156:157], s[22:23], -v[162:163]
	v_fmac_f64_e32 v[162:163], s[20:21], v[148:149]
	v_fma_f64 v[148:149], v[148:149], s[28:29], -v[164:165]
	v_add_f64 v[0:1], v[0:1], v[166:167]
	v_add_f64 v[154:155], v[154:155], v[166:167]
	v_fmac_f64_e32 v[162:163], s[26:27], v[152:153]
	v_fmac_f64_e32 v[148:149], s[26:27], v[152:153]
	v_fmac_f64_e32 v[156:157], s[26:27], v[152:153]
	v_add_f64 v[152:153], v[0:1], -v[162:163]
	v_add_f64 v[158:159], v[154:155], -v[148:149]
	v_add_f64 v[148:149], v[148:149], v[154:155]
	v_add_f64 v[154:155], v[162:163], v[0:1]
	v_add_f64 v[0:1], v[136:137], v[132:133]
	v_add_f64 v[124:125], v[128:129], v[124:125]
	v_add_f64 v[116:117], v[120:121], v[116:117]
	v_add_f64 v[114:115], v[118:119], -v[114:115]
	v_add_f64 v[118:119], v[124:125], v[0:1]
	v_add_f64 v[130:131], v[130:131], -v[134:135]
	;; [unrolled: 38-line block ×3, first 2 shown]
	v_add_f64 v[88:89], v[88:89], -v[92:93]
	v_add_f64 v[86:87], v[90:91], -v[0:1]
	;; [unrolled: 1-line block ×4, first 2 shown]
	v_add_f64 v[82:83], v[82:83], v[84:85]
	v_add_f64 v[92:93], v[80:81], v[88:89]
	v_add_f64 v[94:95], v[80:81], -v[88:89]
	v_add_f64 v[88:89], v[88:89], -v[96:97]
	v_add_f64 v[72:73], v[72:73], v[82:83]
	v_add_f64 v[80:81], v[96:97], -v[80:81]
	v_add_f64 v[84:85], v[92:93], v[96:97]
	v_mul_f64 v[0:1], v[0:1], s[14:15]
	v_mul_f64 v[92:93], v[90:91], s[10:11]
	;; [unrolled: 1-line block ×4, first 2 shown]
	v_mov_b64_e32 v[98:99], v[72:73]
	v_fmac_f64_e32 v[98:99], s[4:5], v[82:83]
	v_fma_f64 v[82:83], v[86:87], s[12:13], -v[92:93]
	v_fma_f64 v[86:87], v[86:87], s[18:19], -v[0:1]
	;; [unrolled: 1-line block ×3, first 2 shown]
	v_fmac_f64_e32 v[94:95], s[20:21], v[80:81]
	v_fma_f64 v[80:81], v[80:81], s[28:29], -v[96:97]
	v_add_f64 v[150:151], v[150:151], v[166:167]
	v_add_f64 v[116:117], v[116:117], v[132:133]
	v_fmac_f64_e32 v[0:1], s[10:11], v[90:91]
	v_add_f64 v[86:87], v[86:87], v[98:99]
	v_fmac_f64_e32 v[80:81], s[26:27], v[84:85]
	v_add_f64 v[178:179], v[178:179], v[192:193]
	v_add_f64 v[160:161], v[156:157], v[150:151]
	v_add_f64 v[150:151], v[150:151], -v[156:157]
	v_add_f64 v[126:127], v[122:123], v[116:117]
	v_add_f64 v[116:117], v[116:117], -v[122:123]
	v_add_f64 v[0:1], v[0:1], v[98:99]
	v_add_f64 v[82:83], v[82:83], v[98:99]
	v_fmac_f64_e32 v[94:95], s[26:27], v[84:85]
	v_fmac_f64_e32 v[88:89], s[26:27], v[84:85]
	v_add_f64 v[90:91], v[86:87], -v[80:81]
	v_add_f64 v[186:187], v[182:183], v[178:179]
	v_add_f64 v[178:179], v[178:179], -v[182:183]
	v_add_f64 v[84:85], v[0:1], -v[94:95]
	v_add_f64 v[92:93], v[88:89], v[82:83]
	v_add_f64 v[82:83], v[82:83], -v[88:89]
	v_add_f64 v[80:81], v[80:81], v[86:87]
	v_add_f64 v[0:1], v[94:95], v[0:1]
	s_waitcnt lgkmcnt(0)
	; wave barrier
	s_waitcnt lgkmcnt(0)
	ds_write2_b64 v74, v[2:3], v[46:47] offset1:1
	ds_write2_b64 v74, v[32:33], v[204:205] offset0:2 offset1:3
	ds_write2_b64 v74, v[34:35], v[36:37] offset0:4 offset1:5
	ds_write_b64 v74, v[38:39] offset:48
	ds_write2_b64 v75, v[174:175], v[44:45] offset1:1
	ds_write2_b64 v75, v[184:185], v[186:187] offset0:2 offset1:3
	ds_write2_b64 v75, v[178:179], v[176:177] offset0:4 offset1:5
	ds_write_b64 v75, v[180:181] offset:48
	;; [unrolled: 4-line block ×5, first 2 shown]
	s_waitcnt lgkmcnt(0)
	; wave barrier
	s_waitcnt lgkmcnt(0)
	ds_read2_b64 v[170:173], v254 offset0:35 offset1:52
	ds_read2_b64 v[166:169], v254 offset0:70 offset1:87
	;; [unrolled: 1-line block ×16, first 2 shown]
	v_accvgpr_read_b32 v2, a2
	ds_read_b64 v[178:179], v2
	v_accvgpr_read_b32 v2, a3
	ds_read_b64 v[136:137], v2
                                        ; implicit-def: $vgpr210_vgpr211
                                        ; implicit-def: $vgpr34_vgpr35
                                        ; implicit-def: $vgpr38_vgpr39
                                        ; implicit-def: $vgpr46_vgpr47
                                        ; implicit-def: $vgpr74_vgpr75
                                        ; implicit-def: $vgpr82_vgpr83
                                        ; implicit-def: $vgpr86_vgpr87
                                        ; implicit-def: $vgpr94_vgpr95
	s_and_saveexec_b64 s[4:5], s[0:1]
	s_cbranch_execz .LBB0_16
; %bb.15:
	v_add_u32_e32 v32, 0x400, v240
	ds_read2_b64 v[0:3], v240 offset0:34 offset1:69
	ds_read2_b64 v[92:95], v240 offset0:104 offset1:139
	;; [unrolled: 1-line block ×4, first 2 shown]
	v_add_u32_e32 v32, 0x800, v240
	ds_read2_b64 v[72:75], v32 offset0:58 offset1:93
	ds_read2_b64 v[44:47], v32 offset0:128 offset1:163
	;; [unrolled: 1-line block ×3, first 2 shown]
	v_add_u32_e32 v32, 0x1000, v240
	ds_read2_b64 v[32:35], v32 offset0:12 offset1:47
	ds_read_b64 v[210:211], v240 offset:4752
.LBB0_16:
	s_or_b64 exec, exec, s[4:5]
	v_mov_b32_e32 v208, 37
	v_mul_lo_u16_sdwa v174, v248, v208 dst_sel:DWORD dst_unused:UNUSED_PAD src0_sel:BYTE_0 src1_sel:DWORD
	v_sub_u16_sdwa v175, v248, v174 dst_sel:DWORD dst_unused:UNUSED_PAD src0_sel:DWORD src1_sel:BYTE_1
	v_lshrrev_b16_e32 v175, 1, v175
	v_and_b32_e32 v175, 0x7f, v175
	v_add_u16_sdwa v174, v175, v174 dst_sel:DWORD dst_unused:UNUSED_PAD src0_sel:DWORD src1_sel:BYTE_1
	v_lshrrev_b16_e32 v246, 2, v174
	v_mul_lo_u16_sdwa v180, v249, v208 dst_sel:DWORD dst_unused:UNUSED_PAD src0_sel:BYTE_0 src1_sel:DWORD
	v_mul_lo_u16_e32 v174, 7, v246
	v_sub_u16_sdwa v181, v249, v180 dst_sel:DWORD dst_unused:UNUSED_PAD src0_sel:DWORD src1_sel:BYTE_1
	v_sub_u16_e32 v247, v248, v174
	v_mov_b32_e32 v209, 8
	v_lshrrev_b16_e32 v181, 1, v181
	v_lshlrev_b32_sdwa v240, v209, v247 dst_sel:DWORD dst_unused:UNUSED_PAD src0_sel:DWORD src1_sel:BYTE_0
	v_and_b32_e32 v181, 0x7f, v181
	global_load_dwordx4 v[174:177], v240, s[8:9]
	v_add_u16_sdwa v180, v181, v180 dst_sel:DWORD dst_unused:UNUSED_PAD src0_sel:DWORD src1_sel:BYTE_1
	v_lshrrev_b16_e32 v181, 2, v180
	v_mul_lo_u16_e32 v180, 7, v181
	v_sub_u16_e32 v180, v249, v180
	v_lshlrev_b32_sdwa v241, v209, v180 dst_sel:DWORD dst_unused:UNUSED_PAD src0_sel:DWORD src1_sel:BYTE_0
	v_accvgpr_write_b32 a5, v181
	v_accvgpr_write_b32 a6, v180
	global_load_dwordx4 v[180:183], v241, s[8:9]
	global_load_dwordx4 v[184:187], v240, s[8:9] offset:16
	global_load_dwordx4 v[204:207], v241, s[8:9] offset:16
	;; [unrolled: 1-line block ×5, first 2 shown]
	s_mov_b32 s4, 0x5d8e7cdc
	s_mov_b32 s5, 0xbfd71e95
	;; [unrolled: 1-line block ×48, first 2 shown]
	s_movk_i32 s33, 0x3b8
	s_waitcnt vmcnt(6) lgkmcnt(14)
	v_mul_f64 v[188:189], v[170:171], v[176:177]
	v_mul_f64 v[176:177], v[228:229], v[176:177]
	v_fmac_f64_e32 v[188:189], v[228:229], v[174:175]
	s_waitcnt vmcnt(5)
	v_mul_f64 v[198:199], v[172:173], v[182:183]
	v_fma_f64 v[176:177], v[170:171], v[174:175], -v[176:177]
	v_mul_f64 v[170:171], v[230:231], v[182:183]
	v_fmac_f64_e32 v[198:199], v[230:231], v[180:181]
	global_load_dwordx4 v[228:231], v241, s[8:9] offset:48
	v_fma_f64 v[244:245], v[172:173], v[180:181], -v[170:171]
	global_load_dwordx4 v[170:173], v240, s[8:9] offset:64
	s_waitcnt vmcnt(6)
	v_mul_f64 v[196:197], v[166:167], v[186:187]
	v_mul_f64 v[174:175], v[224:225], v[186:187]
	v_fmac_f64_e32 v[196:197], v[224:225], v[184:185]
	v_fma_f64 v[182:183], v[166:167], v[184:185], -v[174:175]
	global_load_dwordx4 v[184:187], v241, s[8:9] offset:64
	s_waitcnt vmcnt(6)
	v_mul_f64 v[166:167], v[168:169], v[206:207]
	v_mul_f64 v[174:175], v[226:227], v[206:207]
	v_fmac_f64_e32 v[166:167], v[226:227], v[204:205]
	v_fma_f64 v[168:169], v[168:169], v[204:205], -v[174:175]
	global_load_dwordx4 v[204:207], v240, s[8:9] offset:80
	v_accvgpr_write_b32 a14, v168
	v_accvgpr_write_b32 a15, v169
	s_waitcnt vmcnt(6)
	v_mul_f64 v[190:191], v[162:163], v[218:219]
	v_mul_f64 v[168:169], v[220:221], v[218:219]
	v_fmac_f64_e32 v[190:191], v[220:221], v[216:217]
	v_fma_f64 v[168:169], v[162:163], v[216:217], -v[168:169]
	global_load_dwordx4 v[216:219], v241, s[8:9] offset:80
	s_waitcnt vmcnt(6)
	v_mul_f64 v[162:163], v[164:165], v[194:195]
	v_mul_f64 v[174:175], v[222:223], v[194:195]
	v_fmac_f64_e32 v[162:163], v[222:223], v[192:193]
	global_load_dwordx4 v[220:223], v240, s[8:9] offset:96
	global_load_dwordx4 v[224:227], v240, s[8:9] offset:112
	v_fma_f64 v[164:165], v[164:165], v[192:193], -v[174:175]
	v_accvgpr_write_b32 a10, v164
	s_waitcnt vmcnt(7)
	v_mul_f64 v[174:175], v[212:213], v[252:253]
	v_accvgpr_write_b32 a11, v165
	v_fma_f64 v[164:165], v[158:159], v[250:251], -v[174:175]
	v_mul_f64 v[180:181], v[158:159], v[252:253]
	v_fmac_f64_e32 v[180:181], v[212:213], v[250:251]
	v_accvgpr_write_b32 a48, v168
	v_accvgpr_write_b32 a49, v169
	;; [unrolled: 1-line block ×4, first 2 shown]
	v_accvgpr_mov_b32 a19, a11
	v_accvgpr_mov_b32 a25, a15
	;; [unrolled: 1-line block ×3, first 2 shown]
	v_accvgpr_write_b32 a46, v176
	v_accvgpr_write_b32 a50, v182
	;; [unrolled: 1-line block ×3, first 2 shown]
	v_accvgpr_mov_b32 a24, a14
	v_accvgpr_write_b32 a47, v177
	v_accvgpr_write_b32 a51, v183
	;; [unrolled: 1-line block ×3, first 2 shown]
	global_load_dwordx4 v[250:253], v240, s[8:9] offset:208
	s_waitcnt vmcnt(7)
	v_mul_f64 v[174:175], v[214:215], v[230:231]
	v_mul_f64 v[158:159], v[160:161], v[230:231]
	v_fma_f64 v[160:161], v[160:161], v[228:229], -v[174:175]
	v_accvgpr_write_b32 a8, v160
	s_waitcnt vmcnt(6) lgkmcnt(13)
	v_mul_f64 v[174:175], v[154:155], v[172:173]
	v_mul_f64 v[172:173], v[200:201], v[172:173]
	v_accvgpr_write_b32 a9, v161
	v_fmac_f64_e32 v[174:175], v[200:201], v[170:171]
	v_fma_f64 v[160:161], v[154:155], v[170:171], -v[172:173]
	global_load_dwordx4 v[170:173], v241, s[8:9] offset:112
	s_waitcnt vmcnt(6)
	v_mul_f64 v[154:155], v[156:157], v[186:187]
	v_mul_f64 v[186:187], v[202:203], v[186:187]
	v_fmac_f64_e32 v[154:155], v[202:203], v[184:185]
	global_load_dwordx4 v[200:203], v240, s[8:9] offset:128
	v_fma_f64 v[156:157], v[156:157], v[184:185], -v[186:187]
	s_waitcnt vmcnt(6) lgkmcnt(12)
	v_mul_f64 v[184:185], v[150:151], v[206:207]
	v_mul_f64 v[186:187], v[142:143], v[206:207]
	v_fmac_f64_e32 v[184:185], v[142:143], v[204:205]
	v_fma_f64 v[194:195], v[150:151], v[204:205], -v[186:187]
	global_load_dwordx4 v[204:207], v241, s[8:9] offset:128
	v_fmac_f64_e32 v[158:159], v[214:215], v[228:229]
	global_load_dwordx4 v[212:215], v241, s[8:9] offset:96
	s_waitcnt vmcnt(7)
	v_mul_f64 v[142:143], v[152:153], v[218:219]
	v_mul_f64 v[150:151], v[144:145], v[218:219]
	v_fmac_f64_e32 v[142:143], v[144:145], v[216:217]
	v_fma_f64 v[144:145], v[152:153], v[216:217], -v[150:151]
	global_load_dwordx4 v[216:219], v240, s[8:9] offset:144
	s_waitcnt vmcnt(7) lgkmcnt(11)
	v_mul_f64 v[150:151], v[146:147], v[222:223]
	v_mul_f64 v[152:153], v[138:139], v[222:223]
	v_fmac_f64_e32 v[150:151], v[138:139], v[220:221]
	v_fma_f64 v[186:187], v[146:147], v[220:221], -v[152:153]
	global_load_dwordx4 v[220:223], v241, s[8:9] offset:144
	global_load_dwordx4 v[228:231], v240, s[8:9] offset:160
	s_waitcnt vmcnt(8) lgkmcnt(10)
	v_mul_f64 v[146:147], v[132:133], v[226:227]
	v_fmac_f64_e32 v[146:147], v[108:109], v[224:225]
	v_mul_f64 v[108:109], v[108:109], v[226:227]
	v_fma_f64 v[152:153], v[132:133], v[224:225], -v[108:109]
	global_load_dwordx4 v[224:227], v241, s[8:9] offset:160
	v_accvgpr_write_b32 a54, v156
	v_accvgpr_write_b32 a55, v157
	;; [unrolled: 1-line block ×4, first 2 shown]
	s_waitcnt vmcnt(7)
	v_mul_f64 v[108:109], v[134:135], v[172:173]
	v_fmac_f64_e32 v[108:109], v[110:111], v[170:171]
	v_mul_f64 v[110:111], v[110:111], v[172:173]
	v_fma_f64 v[156:157], v[134:135], v[170:171], -v[110:111]
	global_load_dwordx4 v[170:173], v240, s[8:9] offset:176
	s_waitcnt vmcnt(7) lgkmcnt(9)
	v_mul_f64 v[134:135], v[128:129], v[202:203]
	v_fmac_f64_e32 v[134:135], v[104:105], v[200:201]
	v_mul_f64 v[104:105], v[104:105], v[202:203]
	v_fma_f64 v[192:193], v[128:129], v[200:201], -v[104:105]
	global_load_dwordx4 v[200:203], v241, s[8:9] offset:176
	s_waitcnt vmcnt(7)
	v_mul_f64 v[104:105], v[130:131], v[206:207]
	v_fmac_f64_e32 v[104:105], v[106:107], v[204:205]
	v_mul_f64 v[106:107], v[106:107], v[206:207]
	v_fma_f64 v[132:133], v[130:131], v[204:205], -v[106:107]
	global_load_dwordx4 v[128:131], v240, s[8:9] offset:192
	s_waitcnt vmcnt(7)
	v_mul_f64 v[138:139], v[148:149], v[214:215]
	v_fmac_f64_e32 v[138:139], v[140:141], v[212:213]
	s_waitcnt vmcnt(6) lgkmcnt(8)
	v_mul_f64 v[204:205], v[124:125], v[218:219]
	v_fmac_f64_e32 v[204:205], v[76:77], v[216:217]
	v_mul_f64 v[76:77], v[76:77], v[218:219]
	v_fma_f64 v[106:107], v[124:125], v[216:217], -v[76:77]
	v_mul_f64 v[140:141], v[140:141], v[214:215]
	s_waitcnt vmcnt(5)
	v_mul_f64 v[124:125], v[126:127], v[222:223]
	v_fmac_f64_e32 v[124:125], v[78:79], v[220:221]
	v_mul_f64 v[110:111], v[78:79], v[222:223]
	global_load_dwordx4 v[76:79], v241, s[8:9] offset:192
	v_fma_f64 v[148:149], v[148:149], v[212:213], -v[140:141]
	s_waitcnt vmcnt(5) lgkmcnt(7)
	v_mul_f64 v[212:213], v[120:121], v[230:231]
	v_fmac_f64_e32 v[212:213], v[68:69], v[228:229]
	v_mul_f64 v[68:69], v[68:69], v[230:231]
	v_fma_f64 v[214:215], v[120:121], v[228:229], -v[68:69]
	s_waitcnt vmcnt(4)
	v_mul_f64 v[68:69], v[122:123], v[226:227]
	global_load_dwordx4 v[228:231], v241, s[8:9] offset:208
	v_fmac_f64_e32 v[68:69], v[70:71], v[224:225]
	v_mul_f64 v[70:71], v[70:71], v[226:227]
	v_fma_f64 v[140:141], v[126:127], v[220:221], -v[110:111]
	v_fma_f64 v[110:111], v[122:123], v[224:225], -v[70:71]
	global_load_dwordx4 v[120:123], v240, s[8:9] offset:224
	s_waitcnt lgkmcnt(4)
	v_mul_f64 v[224:225], v[100:101], v[252:253]
	v_fmac_f64_e32 v[224:225], v[56:57], v[250:251]
	v_mul_f64 v[56:57], v[56:57], v[252:253]
	v_fma_f64 v[226:227], v[100:101], v[250:251], -v[56:57]
	s_waitcnt vmcnt(5)
	v_mul_f64 v[216:217], v[116:117], v[172:173]
	v_fmac_f64_e32 v[216:217], v[64:65], v[170:171]
	v_mul_f64 v[64:65], v[64:65], v[172:173]
	v_fma_f64 v[218:219], v[116:117], v[170:171], -v[64:65]
	global_load_dwordx4 v[170:173], v241, s[8:9] offset:224
	s_waitcnt vmcnt(5)
	v_mul_f64 v[64:65], v[118:119], v[202:203]
	v_fmac_f64_e32 v[64:65], v[66:67], v[200:201]
	v_mul_f64 v[66:67], v[66:67], v[202:203]
	v_fma_f64 v[66:67], v[118:119], v[200:201], -v[66:67]
	global_load_dwordx4 v[200:203], v240, s[8:9] offset:240
	;; [unrolled: 6-line block ×3, first 2 shown]
	v_mul_lo_u16_sdwa v60, v255, v208 dst_sel:DWORD dst_unused:UNUSED_PAD src0_sel:BYTE_0 src1_sel:DWORD
	v_sub_u16_sdwa v61, v255, v60 dst_sel:DWORD dst_unused:UNUSED_PAD src0_sel:DWORD src1_sel:BYTE_1
	v_lshrrev_b16_e32 v61, 1, v61
	v_and_b32_e32 v61, 0x7f, v61
	v_add_u16_sdwa v60, v61, v60 dst_sel:DWORD dst_unused:UNUSED_PAD src0_sel:DWORD src1_sel:BYTE_1
	v_lshrrev_b16_e32 v60, 2, v60
	v_mul_lo_u16_e32 v60, 7, v60
	v_sub_u16_e32 v206, v255, v60
	s_waitcnt vmcnt(5)
	v_mul_f64 v[60:61], v[114:115], v[78:79]
	v_lshlrev_b32_sdwa v126, v209, v206 dst_sel:DWORD dst_unused:UNUSED_PAD src0_sel:DWORD src1_sel:BYTE_0
	v_fmac_f64_e32 v[60:61], v[62:63], v[76:77]
	v_mul_f64 v[62:63], v[62:63], v[78:79]
	v_fma_f64 v[62:63], v[114:115], v[76:77], -v[62:63]
	global_load_dwordx4 v[76:79], v126, s[8:9] offset:16
	global_load_dwordx4 v[250:253], v126, s[8:9] offset:32
	s_waitcnt vmcnt(6)
	v_mul_f64 v[56:57], v[102:103], v[230:231]
	global_load_dwordx4 v[114:117], v126, s[8:9] offset:48
	v_fmac_f64_e32 v[56:57], v[58:59], v[228:229]
	v_mul_f64 v[58:59], v[58:59], v[230:231]
	v_fma_f64 v[58:59], v[102:103], v[228:229], -v[58:59]
	s_waitcnt vmcnt(6) lgkmcnt(3)
	v_mul_f64 v[228:229], v[96:97], v[122:123]
	v_fmac_f64_e32 v[228:229], v[52:53], v[120:121]
	v_mul_f64 v[52:53], v[52:53], v[122:123]
	v_fma_f64 v[230:231], v[96:97], v[120:121], -v[52:53]
	global_load_dwordx4 v[118:121], v126, s[8:9] offset:64
	s_waitcnt vmcnt(6)
	v_mul_f64 v[96:97], v[98:99], v[172:173]
	v_mul_f64 v[52:53], v[54:55], v[172:173]
	v_fmac_f64_e32 v[96:97], v[54:55], v[170:171]
	v_fma_f64 v[54:55], v[98:99], v[170:171], -v[52:53]
	global_load_dwordx4 v[170:173], v126, s[8:9] offset:80
	s_waitcnt vmcnt(6) lgkmcnt(2)
	v_mul_f64 v[98:99], v[88:89], v[202:203]
	v_fmac_f64_e32 v[98:99], v[40:41], v[200:201]
	v_mul_f64 v[40:41], v[40:41], v[202:203]
	v_fma_f64 v[240:241], v[88:89], v[200:201], -v[40:41]
	global_load_dwordx4 v[200:203], v126, s[8:9] offset:96
	s_waitcnt vmcnt(6)
	v_mul_f64 v[88:89], v[90:91], v[130:131]
	v_mul_f64 v[40:41], v[42:43], v[130:131]
	v_fmac_f64_e32 v[88:89], v[42:43], v[128:129]
	v_fma_f64 v[90:91], v[90:91], v[128:129], -v[40:41]
	global_load_dwordx4 v[40:43], v126, s[8:9] offset:112
	global_load_dwordx4 v[128:131], v126, s[8:9] offset:128
	s_waitcnt vmcnt(7)
	v_mul_f64 v[112:113], v[92:93], v[78:79]
	v_fmac_f64_e32 v[112:113], v[48:49], v[76:77]
	v_mul_f64 v[48:49], v[48:49], v[78:79]
	v_fma_f64 v[48:49], v[92:93], v[76:77], -v[48:49]
	v_accvgpr_write_b32 a32, v48
	v_accvgpr_write_b32 a33, v49
	s_waitcnt vmcnt(6)
	v_mul_f64 v[48:49], v[50:51], v[252:253]
	v_mul_f64 v[78:79], v[94:95], v[252:253]
	v_fma_f64 v[48:49], v[94:95], v[250:251], -v[48:49]
	global_load_dwordx4 v[92:95], v126, s[8:9]
	s_waitcnt vmcnt(6)
	v_mul_f64 v[102:103], v[84:85], v[116:117]
	v_fmac_f64_e32 v[102:103], v[28:29], v[114:115]
	v_mul_f64 v[28:29], v[28:29], v[116:117]
	v_fma_f64 v[28:29], v[84:85], v[114:115], -v[28:29]
	v_accvgpr_write_b32 a31, v29
	v_accvgpr_write_b32 a30, v28
	s_waitcnt vmcnt(5)
	v_mul_f64 v[28:29], v[30:31], v[120:121]
	v_fma_f64 v[28:29], v[86:87], v[118:119], -v[28:29]
	v_fmac_f64_e32 v[78:79], v[50:51], v[250:251]
	global_load_dwordx4 v[250:253], v126, s[8:9] offset:144
	v_mul_f64 v[84:85], v[86:87], v[120:121]
	v_accvgpr_write_b32 a28, v28
	v_fmac_f64_e32 v[84:85], v[30:31], v[118:119]
	v_accvgpr_write_b32 a29, v29
	global_load_dwordx4 v[28:31], v126, s[8:9] offset:160
	global_load_dwordx4 v[118:121], v126, s[8:9] offset:176
	v_accvgpr_write_b32 a26, v48
	v_accvgpr_write_b32 a27, v49
	global_load_dwordx4 v[114:117], v126, s[8:9] offset:208
	s_waitcnt vmcnt(8)
	v_mul_f64 v[50:51], v[80:81], v[172:173]
	v_fmac_f64_e32 v[50:51], v[24:25], v[170:171]
	v_mul_f64 v[24:25], v[24:25], v[172:173]
	v_fma_f64 v[24:25], v[80:81], v[170:171], -v[24:25]
	global_load_dwordx4 v[170:173], v126, s[8:9] offset:192
	v_accvgpr_write_b32 a16, v24
	s_waitcnt vmcnt(8)
	v_mul_f64 v[70:71], v[82:83], v[202:203]
	v_accvgpr_write_b32 a17, v25
	v_fmac_f64_e32 v[70:71], v[26:27], v[200:201]
	v_mul_f64 v[24:25], v[26:27], v[202:203]
	s_waitcnt vmcnt(7)
	v_mul_f64 v[26:27], v[72:73], v[42:43]
	v_fmac_f64_e32 v[26:27], v[20:21], v[40:41]
	v_mul_f64 v[20:21], v[20:21], v[42:43]
	v_fma_f64 v[202:203], v[72:73], v[40:41], -v[20:21]
	s_waitcnt vmcnt(6)
	v_mul_f64 v[20:21], v[22:23], v[130:131]
	v_fma_f64 v[20:21], v[74:75], v[128:129], -v[20:21]
	v_mul_f64 v[40:41], v[74:75], v[130:131]
	v_accvgpr_write_b32 a12, v20
	v_fmac_f64_e32 v[40:41], v[22:23], v[128:129]
	v_accvgpr_write_b32 a13, v21
	global_load_dwordx4 v[20:23], v126, s[8:9] offset:224
	s_nop 0
	global_load_dwordx4 v[126:129], v126, s[8:9] offset:240
	v_fma_f64 v[24:25], v[82:83], v[200:201], -v[24:25]
	v_accvgpr_write_b32 a20, v24
	v_accvgpr_write_b32 a21, v25
	s_waitcnt lgkmcnt(0)
	; wave barrier
	s_waitcnt vmcnt(7) lgkmcnt(0)
	v_mul_f64 v[200:201], v[2:3], v[94:95]
	v_fmac_f64_e32 v[200:201], v[6:7], v[92:93]
	v_mul_f64 v[6:7], v[6:7], v[94:95]
	v_fma_f64 v[2:3], v[2:3], v[92:93], -v[6:7]
	v_accvgpr_write_b32 a53, v3
	v_accvgpr_write_b32 a52, v2
	v_add_f64 v[6:7], v[176:177], -v[240:241]
	v_mul_f64 v[24:25], v[6:7], s[26:27]
	v_mul_f64 v[42:43], v[6:7], s[36:37]
	v_add_f64 v[92:93], v[182:183], -v[230:231]
	s_waitcnt vmcnt(6)
	v_mul_f64 v[72:73], v[44:45], v[252:253]
	v_mul_f64 v[2:3], v[16:17], v[252:253]
	v_fmac_f64_e32 v[72:73], v[16:17], v[250:251]
	v_fma_f64 v[250:251], v[44:45], v[250:251], -v[2:3]
	v_mul_f64 v[16:17], v[6:7], s[12:13]
	s_waitcnt vmcnt(5)
	v_mul_f64 v[2:3], v[18:19], v[30:31]
	v_fma_f64 v[252:253], v[46:47], v[28:29], -v[2:3]
	s_waitcnt vmcnt(4)
	v_mul_f64 v[2:3], v[12:13], v[120:121]
	v_fma_f64 v[2:3], v[36:37], v[118:119], -v[2:3]
	v_accvgpr_write_b32 a35, v3
	v_accvgpr_write_b32 a34, v2
	v_mul_f64 v[82:83], v[36:37], v[120:121]
	v_mul_f64 v[74:75], v[46:47], v[30:31]
	v_fmac_f64_e32 v[82:83], v[12:13], v[118:119]
	v_mul_f64 v[12:13], v[6:7], s[10:11]
	v_mul_f64 v[30:31], v[6:7], s[30:31]
	v_fmac_f64_e32 v[74:75], v[18:19], v[28:29]
	v_mul_f64 v[94:95], v[92:93], s[10:11]
	s_waitcnt vmcnt(3)
	v_mul_f64 v[122:123], v[32:33], v[116:117]
	v_fmac_f64_e32 v[122:123], v[8:9], v[114:115]
	s_waitcnt vmcnt(2)
	v_mul_f64 v[2:3], v[14:15], v[172:173]
	v_fma_f64 v[2:3], v[38:39], v[170:171], -v[2:3]
	v_accvgpr_write_b32 a37, v3
	v_accvgpr_write_b32 a36, v2
	v_mul_f64 v[2:3], v[8:9], v[116:117]
	v_fma_f64 v[2:3], v[32:33], v[114:115], -v[2:3]
	v_accvgpr_write_b32 a39, v3
	v_accvgpr_write_b32 a38, v2
	v_mul_f64 v[8:9], v[6:7], s[4:5]
	v_mul_f64 v[118:119], v[38:39], v[172:173]
	v_fmac_f64_e32 v[118:119], v[14:15], v[170:171]
	v_add_f64 v[170:171], v[146:147], v[134:135]
	s_waitcnt vmcnt(1)
	v_mul_f64 v[2:3], v[10:11], v[22:23]
	v_fma_f64 v[2:3], v[34:35], v[20:21], -v[2:3]
	v_accvgpr_write_b32 a41, v3
	v_accvgpr_write_b32 a40, v2
	s_waitcnt vmcnt(0)
	v_mul_f64 v[2:3], v[242:243], v[128:129]
	v_mul_f64 v[130:131], v[34:35], v[22:23]
	;; [unrolled: 1-line block ×3, first 2 shown]
	v_fma_f64 v[210:211], v[210:211], v[126:127], -v[2:3]
	v_add_f64 v[2:3], v[188:189], v[98:99]
	v_fmac_f64_e32 v[130:131], v[10:11], v[20:21]
	v_fma_f64 v[10:11], s[14:15], v[2:3], v[8:9]
	v_mul_f64 v[20:21], v[6:7], s[18:19]
	v_mul_f64 v[6:7], v[6:7], s[40:41]
	v_fma_f64 v[8:9], v[2:3], s[14:15], -v[8:9]
	v_fma_f64 v[14:15], s[20:21], v[2:3], v[12:13]
	v_fma_f64 v[12:13], v[2:3], s[20:21], -v[12:13]
	v_fma_f64 v[18:19], s[22:23], v[2:3], v[16:17]
	;; [unrolled: 2-line block ×7, first 2 shown]
	v_fma_f64 v[2:3], v[2:3], s[42:43], -v[6:7]
	v_add_f64 v[6:7], v[238:239], v[10:11]
	v_add_f64 v[10:11], v[196:197], v[228:229]
	v_fma_f64 v[116:117], s[20:21], v[10:11], v[94:95]
	v_add_f64 v[8:9], v[238:239], v[8:9]
	v_fma_f64 v[94:95], v[10:11], s[20:21], -v[94:95]
	v_add_f64 v[8:9], v[94:95], v[8:9]
	v_mul_f64 v[94:95], v[92:93], s[18:19]
	v_add_f64 v[6:7], v[116:117], v[6:7]
	v_fma_f64 v[116:117], s[24:25], v[10:11], v[94:95]
	v_add_f64 v[12:13], v[238:239], v[12:13]
	v_fma_f64 v[94:95], v[10:11], s[24:25], -v[94:95]
	v_add_f64 v[14:15], v[238:239], v[14:15]
	v_add_f64 v[12:13], v[94:95], v[12:13]
	v_mul_f64 v[94:95], v[92:93], s[30:31]
	v_add_f64 v[14:15], v[116:117], v[14:15]
	v_fma_f64 v[116:117], s[34:35], v[10:11], v[94:95]
	v_add_f64 v[16:17], v[238:239], v[16:17]
	v_fma_f64 v[94:95], v[10:11], s[34:35], -v[94:95]
	v_add_f64 v[18:19], v[238:239], v[18:19]
	;; [unrolled: 7-line block ×5, first 2 shown]
	v_add_f64 v[30:31], v[94:95], v[30:31]
	v_mul_f64 v[94:95], v[92:93], s[48:49]
	v_add_f64 v[32:33], v[116:117], v[32:33]
	v_fma_f64 v[116:117], s[22:23], v[10:11], v[94:95]
	v_add_f64 v[42:43], v[238:239], v[42:43]
	v_fma_f64 v[94:95], v[10:11], s[22:23], -v[94:95]
	v_mul_f64 v[92:93], v[92:93], s[50:51]
	v_add_f64 v[42:43], v[94:95], v[42:43]
	v_add_f64 v[48:49], v[238:239], v[48:49]
	v_fma_f64 v[94:95], s[14:15], v[10:11], v[92:93]
	v_fma_f64 v[10:11], v[10:11], s[14:15], -v[92:93]
	v_add_f64 v[2:3], v[238:239], v[2:3]
	v_add_f64 v[92:93], v[168:169], -v[226:227]
	v_add_f64 v[46:47], v[238:239], v[46:47]
	v_add_f64 v[48:49], v[94:95], v[48:49]
	;; [unrolled: 1-line block ×4, first 2 shown]
	v_mul_f64 v[94:95], v[92:93], s[12:13]
	v_add_f64 v[46:47], v[116:117], v[46:47]
	v_fma_f64 v[116:117], s[22:23], v[10:11], v[94:95]
	v_fma_f64 v[94:95], v[10:11], s[22:23], -v[94:95]
	v_add_f64 v[8:9], v[94:95], v[8:9]
	v_mul_f64 v[94:95], v[92:93], s[30:31]
	v_add_f64 v[6:7], v[116:117], v[6:7]
	v_fma_f64 v[116:117], s[34:35], v[10:11], v[94:95]
	v_fma_f64 v[94:95], v[10:11], s[34:35], -v[94:95]
	v_add_f64 v[12:13], v[94:95], v[12:13]
	v_mul_f64 v[94:95], v[92:93], s[54:55]
	v_add_f64 v[14:15], v[116:117], v[14:15]
	v_fma_f64 v[116:117], s[42:43], v[10:11], v[94:95]
	v_fma_f64 v[94:95], v[10:11], s[42:43], -v[94:95]
	v_add_f64 v[16:17], v[94:95], v[16:17]
	v_mul_f64 v[94:95], v[92:93], s[44:45]
	v_add_f64 v[18:19], v[116:117], v[18:19]
	v_fma_f64 v[116:117], s[28:29], v[10:11], v[94:95]
	v_fma_f64 v[94:95], v[10:11], s[28:29], -v[94:95]
	v_add_f64 v[20:21], v[94:95], v[20:21]
	v_mul_f64 v[94:95], v[92:93], s[52:53]
	v_add_f64 v[22:23], v[116:117], v[22:23]
	v_fma_f64 v[116:117], s[20:21], v[10:11], v[94:95]
	v_fma_f64 v[94:95], v[10:11], s[20:21], -v[94:95]
	v_add_f64 v[24:25], v[94:95], v[24:25]
	v_mul_f64 v[94:95], v[92:93], s[4:5]
	v_add_f64 v[28:29], v[116:117], v[28:29]
	v_fma_f64 v[116:117], s[14:15], v[10:11], v[94:95]
	v_fma_f64 v[94:95], v[10:11], s[14:15], -v[94:95]
	v_add_f64 v[30:31], v[94:95], v[30:31]
	v_mul_f64 v[94:95], v[92:93], s[18:19]
	v_add_f64 v[32:33], v[116:117], v[32:33]
	v_fma_f64 v[116:117], s[24:25], v[10:11], v[94:95]
	v_fma_f64 v[94:95], v[10:11], s[24:25], -v[94:95]
	v_mul_f64 v[92:93], v[92:93], s[36:37]
	v_add_f64 v[42:43], v[94:95], v[42:43]
	v_fma_f64 v[94:95], s[38:39], v[10:11], v[92:93]
	v_fma_f64 v[10:11], v[10:11], s[38:39], -v[92:93]
	v_add_f64 v[92:93], v[164:165], -v[222:223]
	v_add_f64 v[48:49], v[94:95], v[48:49]
	v_add_f64 v[2:3], v[10:11], v[2:3]
	v_add_f64 v[10:11], v[180:181], v[220:221]
	v_mul_f64 v[94:95], v[92:93], s[18:19]
	v_add_f64 v[46:47], v[116:117], v[46:47]
	v_fma_f64 v[116:117], s[24:25], v[10:11], v[94:95]
	v_fma_f64 v[94:95], v[10:11], s[24:25], -v[94:95]
	v_add_f64 v[8:9], v[94:95], v[8:9]
	v_mul_f64 v[94:95], v[92:93], s[40:41]
	v_add_f64 v[6:7], v[116:117], v[6:7]
	v_fma_f64 v[116:117], s[42:43], v[10:11], v[94:95]
	v_fma_f64 v[94:95], v[10:11], s[42:43], -v[94:95]
	v_add_f64 v[12:13], v[94:95], v[12:13]
	v_mul_f64 v[94:95], v[92:93], s[44:45]
	v_add_f64 v[14:15], v[116:117], v[14:15]
	v_fma_f64 v[116:117], s[28:29], v[10:11], v[94:95]
	v_fma_f64 v[94:95], v[10:11], s[28:29], -v[94:95]
	v_add_f64 v[16:17], v[94:95], v[16:17]
	v_mul_f64 v[94:95], v[92:93], s[50:51]
	v_add_f64 v[18:19], v[116:117], v[18:19]
	v_fma_f64 v[116:117], s[14:15], v[10:11], v[94:95]
	v_fma_f64 v[94:95], v[10:11], s[14:15], -v[94:95]
	v_add_f64 v[20:21], v[94:95], v[20:21]
	v_mul_f64 v[94:95], v[92:93], s[12:13]
	v_add_f64 v[22:23], v[116:117], v[22:23]
	v_fma_f64 v[116:117], s[22:23], v[10:11], v[94:95]
	v_fma_f64 v[94:95], v[10:11], s[22:23], -v[94:95]
	v_add_f64 v[24:25], v[94:95], v[24:25]
	v_mul_f64 v[94:95], v[92:93], s[36:37]
	v_add_f64 v[28:29], v[116:117], v[28:29]
	v_fma_f64 v[116:117], s[38:39], v[10:11], v[94:95]
	v_fma_f64 v[94:95], v[10:11], s[38:39], -v[94:95]
	v_add_f64 v[30:31], v[94:95], v[30:31]
	v_mul_f64 v[94:95], v[92:93], s[56:57]
	v_add_f64 v[32:33], v[116:117], v[32:33]
	v_fma_f64 v[116:117], s[34:35], v[10:11], v[94:95]
	v_fma_f64 v[94:95], v[10:11], s[34:35], -v[94:95]
	v_mul_f64 v[92:93], v[92:93], s[52:53]
	v_add_f64 v[42:43], v[94:95], v[42:43]
	v_fma_f64 v[94:95], s[20:21], v[10:11], v[92:93]
	v_fma_f64 v[10:11], v[10:11], s[20:21], -v[92:93]
	v_add_f64 v[92:93], v[160:161], -v[218:219]
	v_add_f64 v[48:49], v[94:95], v[48:49]
	v_add_f64 v[2:3], v[10:11], v[2:3]
	v_add_f64 v[10:11], v[174:175], v[216:217]
	;; [unrolled: 42-line block ×3, first 2 shown]
	v_mul_f64 v[94:95], v[92:93], s[30:31]
	v_add_f64 v[46:47], v[116:117], v[46:47]
	v_fma_f64 v[116:117], s[34:35], v[10:11], v[94:95]
	v_fma_f64 v[94:95], v[10:11], s[34:35], -v[94:95]
	v_add_f64 v[8:9], v[94:95], v[8:9]
	v_mul_f64 v[94:95], v[92:93], s[44:45]
	v_add_f64 v[6:7], v[116:117], v[6:7]
	v_fma_f64 v[116:117], s[28:29], v[10:11], v[94:95]
	v_fma_f64 v[94:95], v[10:11], s[28:29], -v[94:95]
	v_add_f64 v[12:13], v[94:95], v[12:13]
	;; [unrolled: 5-line block ×6, first 2 shown]
	v_mul_f64 v[94:95], v[92:93], s[40:41]
	v_mov_b64_e32 v[168:169], v[132:133]
	v_mov_b64_e32 v[132:133], v[152:153]
	;; [unrolled: 1-line block ×3, first 2 shown]
	v_add_f64 v[32:33], v[116:117], v[32:33]
	v_fma_f64 v[116:117], s[42:43], v[10:11], v[94:95]
	v_fma_f64 v[94:95], v[10:11], s[42:43], -v[94:95]
	v_mul_f64 v[92:93], v[92:93], s[48:49]
	v_add_f64 v[42:43], v[94:95], v[42:43]
	v_fma_f64 v[94:95], s[22:23], v[10:11], v[92:93]
	v_fma_f64 v[10:11], v[10:11], s[22:23], -v[92:93]
	v_add_f64 v[92:93], v[152:153], -v[106:107]
	v_add_f64 v[48:49], v[94:95], v[48:49]
	v_add_f64 v[2:3], v[10:11], v[2:3]
	;; [unrolled: 1-line block ×3, first 2 shown]
	v_mul_f64 v[94:95], v[92:93], s[36:37]
	v_add_f64 v[46:47], v[116:117], v[46:47]
	v_fma_f64 v[116:117], s[38:39], v[10:11], v[94:95]
	v_fma_f64 v[94:95], v[10:11], s[38:39], -v[94:95]
	v_add_f64 v[8:9], v[94:95], v[8:9]
	v_mul_f64 v[94:95], v[92:93], s[48:49]
	v_add_f64 v[6:7], v[116:117], v[6:7]
	v_fma_f64 v[116:117], s[22:23], v[10:11], v[94:95]
	v_fma_f64 v[94:95], v[10:11], s[22:23], -v[94:95]
	v_add_f64 v[12:13], v[94:95], v[12:13]
	v_mul_f64 v[94:95], v[92:93], s[18:19]
	v_add_f64 v[14:15], v[116:117], v[14:15]
	v_fma_f64 v[116:117], s[24:25], v[10:11], v[94:95]
	v_add_f64 v[116:117], v[116:117], v[18:19]
	v_fma_f64 v[18:19], v[10:11], s[24:25], -v[94:95]
	v_add_f64 v[94:95], v[18:19], v[16:17]
	v_mul_f64 v[16:17], v[92:93], s[56:57]
	v_fma_f64 v[18:19], s[34:35], v[10:11], v[16:17]
	v_fma_f64 v[16:17], v[10:11], s[34:35], -v[16:17]
	v_fmac_f64_e32 v[208:209], v[242:243], v[126:127]
	v_add_f64 v[126:127], v[16:17], v[20:21]
	v_mul_f64 v[16:17], v[92:93], s[4:5]
	v_add_f64 v[120:121], v[18:19], v[22:23]
	v_fma_f64 v[18:19], s[14:15], v[10:11], v[16:17]
	v_fma_f64 v[16:17], v[10:11], s[14:15], -v[16:17]
	v_add_f64 v[24:25], v[16:17], v[24:25]
	v_mul_f64 v[16:17], v[92:93], s[40:41]
	v_add_f64 v[28:29], v[18:19], v[28:29]
	v_fma_f64 v[18:19], s[42:43], v[10:11], v[16:17]
	v_fma_f64 v[16:17], v[10:11], s[42:43], -v[16:17]
	;; [unrolled: 5-line block ×4, first 2 shown]
	v_add_f64 v[172:173], v[132:133], -v[192:193]
	v_add_f64 v[92:93], v[10:11], v[2:3]
	v_mul_f64 v[2:3], v[172:173], s[40:41]
	v_fma_f64 v[10:11], s[42:43], v[170:171], v[2:3]
	v_add_f64 v[48:49], v[18:19], v[48:49]
	v_add_f64 v[18:19], v[10:11], v[6:7]
	v_fma_f64 v[2:3], v[170:171], s[42:43], -v[2:3]
	v_mul_f64 v[6:7], v[172:173], s[50:51]
	v_add_f64 v[2:3], v[2:3], v[8:9]
	v_fma_f64 v[8:9], s[14:15], v[170:171], v[6:7]
	v_add_f64 v[16:17], v[8:9], v[14:15]
	v_mul_f64 v[8:9], v[172:173], s[36:37]
	v_fma_f64 v[10:11], s[38:39], v[170:171], v[8:9]
	v_fma_f64 v[8:9], v[170:171], s[38:39], -v[8:9]
	v_add_f64 v[8:9], v[8:9], v[94:95]
	v_add_f64 v[94:95], v[238:239], v[188:189]
	;; [unrolled: 1-line block ×5, first 2 shown]
	v_fma_f64 v[6:7], v[170:171], s[14:15], -v[6:7]
	v_add_f64 v[22:23], v[10:11], v[116:117]
	v_mul_f64 v[10:11], v[172:173], s[52:53]
	v_add_f64 v[94:95], v[94:95], v[174:175]
	v_add_f64 v[6:7], v[6:7], v[12:13]
	v_fma_f64 v[12:13], s[20:21], v[170:171], v[10:11]
	v_add_f64 v[94:95], v[94:95], v[184:185]
	v_add_f64 v[20:21], v[12:13], v[120:121]
	v_mul_f64 v[12:13], v[172:173], s[30:31]
	v_add_f64 v[94:95], v[94:95], v[150:151]
	v_fma_f64 v[14:15], s[34:35], v[170:171], v[12:13]
	v_add_f64 v[94:95], v[94:95], v[146:147]
	v_add_f64 v[30:31], v[14:15], v[28:29]
	v_fma_f64 v[12:13], v[170:171], s[34:35], -v[12:13]
	v_mul_f64 v[14:15], v[172:173], s[48:49]
	v_add_f64 v[94:95], v[94:95], v[134:135]
	v_add_f64 v[12:13], v[12:13], v[24:25]
	v_fma_f64 v[24:25], s[22:23], v[170:171], v[14:15]
	v_mul_f64 v[28:29], v[172:173], s[26:27]
	v_add_f64 v[94:95], v[94:95], v[204:205]
	v_add_f64 v[24:25], v[24:25], v[32:33]
	v_fma_f64 v[32:33], s[28:29], v[170:171], v[28:29]
	v_fma_f64 v[28:29], v[170:171], s[28:29], -v[28:29]
	v_add_f64 v[94:95], v[94:95], v[212:213]
	v_add_f64 v[32:33], v[32:33], v[46:47]
	;; [unrolled: 1-line block ×3, first 2 shown]
	v_mul_f64 v[28:29], v[172:173], s[58:59]
	v_add_f64 v[94:95], v[94:95], v[216:217]
	v_fma_f64 v[42:43], s[24:25], v[170:171], v[28:29]
	v_add_f64 v[94:95], v[94:95], v[220:221]
	v_add_f64 v[48:49], v[42:43], v[48:49]
	v_fma_f64 v[28:29], v[170:171], s[24:25], -v[28:29]
	v_mov_b32_e32 v42, 3
	v_add_f64 v[94:95], v[94:95], v[224:225]
	v_add_f64 v[92:93], v[28:29], v[92:93]
	v_mad_u32_u24 v28, v246, s33, 0
	v_lshlrev_b32_sdwa v29, v42, v247 dst_sel:DWORD dst_unused:UNUSED_PAD src0_sel:DWORD src1_sel:BYTE_0
	v_accvgpr_read_b32 v160, a4
	v_add_f64 v[94:95], v[94:95], v[228:229]
	v_add3_u32 v28, v28, v29, v160
	v_add_f64 v[94:95], v[94:95], v[98:99]
	v_accvgpr_read_b32 v35, a15
	ds_write2_b64 v28, v[94:95], v[18:19] offset1:7
	v_add_f64 v[94:95], v[244:245], -v[90:91]
	v_accvgpr_read_b32 v34, a14
	v_fma_f64 v[10:11], v[170:171], s[20:21], -v[10:11]
	v_fma_f64 v[14:15], v[170:171], s[22:23], -v[14:15]
	v_add_f64 v[18:19], v[198:199], v[88:89]
	ds_write2_b64 v28, v[16:17], v[22:23] offset0:14 offset1:21
	v_mul_f64 v[16:17], v[94:95], s[4:5]
	v_add_f64 v[120:121], v[34:35], -v[54:55]
	v_add_f64 v[10:11], v[10:11], v[126:127]
	v_add_f64 v[14:15], v[14:15], v[128:129]
	v_fma_f64 v[238:239], s[14:15], v[18:19], v[16:17]
	v_fma_f64 v[16:17], v[18:19], s[14:15], -v[16:17]
	v_add_f64 v[116:117], v[166:167], v[96:97]
	v_mul_f64 v[126:127], v[120:121], s[10:11]
	ds_write2_b64 v28, v[20:21], v[30:31] offset0:28 offset1:35
	v_mul_f64 v[20:21], v[94:95], s[10:11]
	ds_write2_b64 v28, v[24:25], v[32:33] offset0:42 offset1:49
	;; [unrolled: 2-line block ×6, first 2 shown]
	v_mul_f64 v[6:7], v[94:95], s[36:37]
	v_mul_f64 v[92:93], v[94:95], s[40:41]
	v_fma_f64 v[128:129], s[20:21], v[116:117], v[126:127]
	v_add_f64 v[16:17], v[236:237], v[16:17]
	v_fma_f64 v[126:127], v[116:117], s[20:21], -v[126:127]
	v_fma_f64 v[30:31], s[20:21], v[18:19], v[20:21]
	v_fma_f64 v[20:21], v[18:19], s[20:21], -v[20:21]
	v_fma_f64 v[32:33], s[22:23], v[18:19], v[22:23]
	;; [unrolled: 2-line block ×7, first 2 shown]
	v_fma_f64 v[18:19], v[18:19], s[42:43], -v[92:93]
	v_add_f64 v[92:93], v[236:237], v[238:239]
	v_add_f64 v[16:17], v[126:127], v[16:17]
	v_mul_f64 v[126:127], v[120:121], s[18:19]
	v_add_f64 v[92:93], v[128:129], v[92:93]
	v_fma_f64 v[128:129], s[24:25], v[116:117], v[126:127]
	v_add_f64 v[20:21], v[236:237], v[20:21]
	v_fma_f64 v[126:127], v[116:117], s[24:25], -v[126:127]
	v_add_f64 v[30:31], v[236:237], v[30:31]
	v_add_f64 v[20:21], v[126:127], v[20:21]
	v_mul_f64 v[126:127], v[120:121], s[30:31]
	v_add_f64 v[30:31], v[128:129], v[30:31]
	v_fma_f64 v[128:129], s[34:35], v[116:117], v[126:127]
	v_add_f64 v[22:23], v[236:237], v[22:23]
	;; [unrolled: 7-line block ×5, first 2 shown]
	v_fma_f64 v[126:127], v[116:117], s[28:29], -v[126:127]
	v_add_f64 v[12:13], v[236:237], v[12:13]
	v_add_f64 v[10:11], v[126:127], v[10:11]
	v_mul_f64 v[126:127], v[120:121], s[48:49]
	v_accvgpr_read_b32 v35, a11
	v_add_f64 v[12:13], v[128:129], v[12:13]
	v_fma_f64 v[128:129], s[22:23], v[116:117], v[126:127]
	v_add_f64 v[6:7], v[236:237], v[6:7]
	v_fma_f64 v[126:127], v[116:117], s[22:23], -v[126:127]
	v_mul_f64 v[120:121], v[120:121], s[50:51]
	v_accvgpr_read_b32 v34, a10
	v_add_f64 v[6:7], v[126:127], v[6:7]
	v_add_f64 v[94:95], v[236:237], v[94:95]
	v_fma_f64 v[126:127], s[14:15], v[116:117], v[120:121]
	v_fma_f64 v[116:117], v[116:117], s[14:15], -v[120:121]
	v_add_f64 v[18:19], v[236:237], v[18:19]
	v_add_f64 v[120:121], v[34:35], -v[58:59]
	v_add_f64 v[8:9], v[236:237], v[8:9]
	v_add_f64 v[94:95], v[126:127], v[94:95]
	;; [unrolled: 1-line block ×4, first 2 shown]
	v_mul_f64 v[126:127], v[120:121], s[12:13]
	v_add_f64 v[8:9], v[128:129], v[8:9]
	v_fma_f64 v[128:129], s[22:23], v[116:117], v[126:127]
	v_fma_f64 v[126:127], v[116:117], s[22:23], -v[126:127]
	v_add_f64 v[16:17], v[126:127], v[16:17]
	v_mul_f64 v[126:127], v[120:121], s[30:31]
	v_add_f64 v[92:93], v[128:129], v[92:93]
	v_fma_f64 v[128:129], s[34:35], v[116:117], v[126:127]
	v_fma_f64 v[126:127], v[116:117], s[34:35], -v[126:127]
	v_add_f64 v[20:21], v[126:127], v[20:21]
	;; [unrolled: 5-line block ×6, first 2 shown]
	v_mul_f64 v[126:127], v[120:121], s[18:19]
	v_accvgpr_read_b32 v35, a9
	v_add_f64 v[12:13], v[128:129], v[12:13]
	v_fma_f64 v[128:129], s[24:25], v[116:117], v[126:127]
	v_fma_f64 v[126:127], v[116:117], s[24:25], -v[126:127]
	v_mul_f64 v[120:121], v[120:121], s[36:37]
	v_accvgpr_read_b32 v34, a8
	v_add_f64 v[6:7], v[126:127], v[6:7]
	v_fma_f64 v[126:127], s[38:39], v[116:117], v[120:121]
	v_fma_f64 v[116:117], v[116:117], s[38:39], -v[120:121]
	v_add_f64 v[120:121], v[34:35], -v[62:63]
	v_add_f64 v[94:95], v[126:127], v[94:95]
	v_add_f64 v[18:19], v[116:117], v[18:19]
	v_add_f64 v[116:117], v[158:159], v[60:61]
	v_mul_f64 v[126:127], v[120:121], s[18:19]
	v_add_f64 v[8:9], v[128:129], v[8:9]
	v_fma_f64 v[128:129], s[24:25], v[116:117], v[126:127]
	v_fma_f64 v[126:127], v[116:117], s[24:25], -v[126:127]
	v_add_f64 v[16:17], v[126:127], v[16:17]
	v_mul_f64 v[126:127], v[120:121], s[40:41]
	v_add_f64 v[92:93], v[128:129], v[92:93]
	v_fma_f64 v[128:129], s[42:43], v[116:117], v[126:127]
	v_fma_f64 v[126:127], v[116:117], s[42:43], -v[126:127]
	v_add_f64 v[20:21], v[126:127], v[20:21]
	;; [unrolled: 5-line block ×5, first 2 shown]
	v_mul_f64 v[126:127], v[120:121], s[36:37]
	v_add_f64 v[46:47], v[128:129], v[46:47]
	v_fma_f64 v[128:129], s[38:39], v[116:117], v[126:127]
	v_fma_f64 v[126:127], v[116:117], s[38:39], -v[126:127]
	v_accvgpr_read_b32 v165, a55
	v_add_f64 v[10:11], v[126:127], v[10:11]
	v_mul_f64 v[126:127], v[120:121], s[56:57]
	v_accvgpr_read_b32 v164, a54
	v_add_f64 v[12:13], v[128:129], v[12:13]
	v_fma_f64 v[128:129], s[34:35], v[116:117], v[126:127]
	v_fma_f64 v[126:127], v[116:117], s[34:35], -v[126:127]
	v_mul_f64 v[120:121], v[120:121], s[52:53]
	v_add_f64 v[6:7], v[126:127], v[6:7]
	v_fma_f64 v[126:127], s[20:21], v[116:117], v[120:121]
	v_fma_f64 v[116:117], v[116:117], s[20:21], -v[120:121]
	v_add_f64 v[120:121], v[164:165], -v[66:67]
	v_add_f64 v[94:95], v[126:127], v[94:95]
	v_add_f64 v[18:19], v[116:117], v[18:19]
	v_add_f64 v[116:117], v[154:155], v[64:65]
	v_mul_f64 v[126:127], v[120:121], s[26:27]
	v_add_f64 v[8:9], v[128:129], v[8:9]
	v_fma_f64 v[128:129], s[28:29], v[116:117], v[126:127]
	v_fma_f64 v[126:127], v[116:117], s[28:29], -v[126:127]
	v_add_f64 v[16:17], v[126:127], v[16:17]
	v_mul_f64 v[126:127], v[120:121], s[46:47]
	v_add_f64 v[92:93], v[128:129], v[92:93]
	v_fma_f64 v[128:129], s[38:39], v[116:117], v[126:127]
	v_fma_f64 v[126:127], v[116:117], s[38:39], -v[126:127]
	v_add_f64 v[20:21], v[126:127], v[20:21]
	v_mul_f64 v[126:127], v[120:121], s[52:53]
	v_add_f64 v[30:31], v[128:129], v[30:31]
	v_fma_f64 v[128:129], s[20:21], v[116:117], v[126:127]
	v_fma_f64 v[126:127], v[116:117], s[20:21], -v[126:127]
	v_add_f64 v[22:23], v[126:127], v[22:23]
	v_mul_f64 v[126:127], v[120:121], s[12:13]
	v_add_f64 v[32:33], v[128:129], v[32:33]
	v_fma_f64 v[128:129], s[22:23], v[116:117], v[126:127]
	v_fma_f64 v[126:127], v[116:117], s[22:23], -v[126:127]
	v_add_f64 v[24:25], v[126:127], v[24:25]
	v_mul_f64 v[126:127], v[120:121], s[40:41]
	v_add_f64 v[48:49], v[128:129], v[48:49]
	v_fma_f64 v[128:129], s[42:43], v[116:117], v[126:127]
	v_fma_f64 v[126:127], v[116:117], s[42:43], -v[126:127]
	v_add_f64 v[14:15], v[126:127], v[14:15]
	v_mul_f64 v[126:127], v[120:121], s[58:59]
	v_add_f64 v[46:47], v[128:129], v[46:47]
	v_fma_f64 v[128:129], s[24:25], v[116:117], v[126:127]
	v_fma_f64 v[126:127], v[116:117], s[24:25], -v[126:127]
	v_add_f64 v[10:11], v[126:127], v[10:11]
	v_mul_f64 v[126:127], v[120:121], s[4:5]
	v_add_f64 v[12:13], v[128:129], v[12:13]
	v_fma_f64 v[128:129], s[14:15], v[116:117], v[126:127]
	v_fma_f64 v[126:127], v[116:117], s[14:15], -v[126:127]
	v_mul_f64 v[120:121], v[120:121], s[30:31]
	v_add_f64 v[6:7], v[126:127], v[6:7]
	v_fma_f64 v[126:127], s[34:35], v[116:117], v[120:121]
	v_fma_f64 v[116:117], v[116:117], s[34:35], -v[120:121]
	v_add_f64 v[120:121], v[144:145], -v[110:111]
	v_add_f64 v[94:95], v[126:127], v[94:95]
	v_add_f64 v[18:19], v[116:117], v[18:19]
	v_add_f64 v[116:117], v[142:143], v[68:69]
	v_mul_f64 v[126:127], v[120:121], s[30:31]
	v_add_f64 v[8:9], v[128:129], v[8:9]
	v_fma_f64 v[128:129], s[34:35], v[116:117], v[126:127]
	v_fma_f64 v[126:127], v[116:117], s[34:35], -v[126:127]
	v_add_f64 v[16:17], v[126:127], v[16:17]
	v_mul_f64 v[126:127], v[120:121], s[44:45]
	v_add_f64 v[92:93], v[128:129], v[92:93]
	v_fma_f64 v[128:129], s[28:29], v[116:117], v[126:127]
	v_fma_f64 v[126:127], v[116:117], s[28:29], -v[126:127]
	v_add_f64 v[20:21], v[126:127], v[20:21]
	v_mul_f64 v[126:127], v[120:121], s[4:5]
	v_add_f64 v[30:31], v[128:129], v[30:31]
	v_fma_f64 v[128:129], s[14:15], v[116:117], v[126:127]
	v_fma_f64 v[126:127], v[116:117], s[14:15], -v[126:127]
	v_add_f64 v[22:23], v[126:127], v[22:23]
	v_mul_f64 v[126:127], v[120:121], s[36:37]
	v_add_f64 v[32:33], v[128:129], v[32:33]
	v_fma_f64 v[128:129], s[38:39], v[116:117], v[126:127]
	v_fma_f64 v[126:127], v[116:117], s[38:39], -v[126:127]
	v_add_f64 v[24:25], v[126:127], v[24:25]
	v_mul_f64 v[126:127], v[120:121], s[58:59]
	v_add_f64 v[48:49], v[128:129], v[48:49]
	v_fma_f64 v[128:129], s[24:25], v[116:117], v[126:127]
	v_fma_f64 v[126:127], v[116:117], s[24:25], -v[126:127]
	v_add_f64 v[14:15], v[126:127], v[14:15]
	v_mul_f64 v[126:127], v[120:121], s[10:11]
	v_add_f64 v[46:47], v[128:129], v[46:47]
	v_fma_f64 v[128:129], s[20:21], v[116:117], v[126:127]
	v_fma_f64 v[126:127], v[116:117], s[20:21], -v[126:127]
	v_add_f64 v[10:11], v[126:127], v[10:11]
	v_mul_f64 v[126:127], v[120:121], s[40:41]
	;; [unrolled: 42-line block ×4, first 2 shown]
	v_add_f64 v[12:13], v[128:129], v[12:13]
	v_fma_f64 v[128:129], s[28:29], v[116:117], v[126:127]
	v_fma_f64 v[126:127], v[116:117], s[28:29], -v[126:127]
	v_mul_f64 v[120:121], v[120:121], s[58:59]
	v_add_f64 v[6:7], v[126:127], v[6:7]
	v_fma_f64 v[126:127], s[24:25], v[116:117], v[120:121]
	v_fma_f64 v[116:117], v[116:117], s[24:25], -v[120:121]
	v_add_f64 v[18:19], v[116:117], v[18:19]
	v_add_f64 v[116:117], v[236:237], v[198:199]
	;; [unrolled: 1-line block ×14, first 2 shown]
	v_accvgpr_mov_b32 a11, a9
	v_add_f64 v[116:117], v[116:117], v[56:57]
	ds_write_b64 v28, v[2:3] offset:896
	v_accvgpr_read_b32 v2, a5
	v_accvgpr_read_b32 v3, a6
	v_accvgpr_mov_b32 a10, a8
	v_accvgpr_write_b32 a14, v144
	v_accvgpr_write_b32 a8, v148
	v_add_f64 v[116:117], v[116:117], v[96:97]
	v_mad_u32_u24 v2, v2, s33, 0
	v_lshlrev_b32_sdwa v3, v42, v3 dst_sel:DWORD dst_unused:UNUSED_PAD src0_sel:DWORD src1_sel:BYTE_0
	v_accvgpr_write_b32 a15, v145
	v_accvgpr_write_b32 a9, v149
	v_add_f64 v[116:117], v[116:117], v[88:89]
	v_add3_u32 v29, v2, v3, v160
	v_add_f64 v[8:9], v[128:129], v[8:9]
	v_add_f64 v[94:95], v[126:127], v[94:95]
	ds_write2_b64 v29, v[116:117], v[92:93] offset1:7
	ds_write2_b64 v29, v[30:31], v[32:33] offset0:14 offset1:21
	ds_write2_b64 v29, v[48:49], v[46:47] offset0:28 offset1:35
	;; [unrolled: 1-line block ×7, first 2 shown]
	ds_write_b64 v29, v[16:17] offset:896
	s_and_saveexec_b64 s[60:61], s[0:1]
	s_cbranch_execz .LBB0_18
; %bb.17:
	v_accvgpr_read_b32 v14, a28
	v_accvgpr_read_b32 v16, a34
	v_accvgpr_read_b32 v15, a29
	v_accvgpr_read_b32 v17, a35
	v_add_f64 v[46:47], v[14:15], -v[16:17]
	v_accvgpr_read_b32 v16, a30
	v_accvgpr_read_b32 v18, a36
	v_accvgpr_read_b32 v17, a31
	v_accvgpr_read_b32 v19, a37
	v_add_f64 v[48:49], v[16:17], -v[18:19]
	;; [unrolled: 5-line block ×4, first 2 shown]
	v_accvgpr_read_b32 v34, a52
	v_accvgpr_read_b32 v35, a53
	;; [unrolled: 1-line block ×3, first 2 shown]
	v_add_f64 v[238:239], v[34:35], -v[210:211]
	v_accvgpr_read_b32 v11, a21
	v_accvgpr_read_b32 v12, a16
	v_add_f64 v[20:21], v[200:201], v[208:209]
	v_mul_f64 v[100:101], v[238:239], s[40:41]
	v_add_f64 v[30:31], v[10:11], -v[250:251]
	v_accvgpr_read_b32 v13, a17
	v_add_f64 v[18:19], v[112:113], v[130:131]
	v_mov_b64_e32 v[176:177], v[250:251]
	v_mul_f64 v[250:251], v[94:95], s[50:51]
	v_fma_f64 v[86:87], v[20:21], s[42:43], -v[100:101]
	v_add_f64 v[32:33], v[12:13], -v[252:253]
	v_add_f64 v[16:17], v[78:79], v[122:123]
	v_mul_f64 v[244:245], v[92:93], s[36:37]
	v_mov_b64_e32 v[182:183], v[252:253]
	v_fma_f64 v[252:253], v[18:19], s[14:15], -v[250:251]
	v_add_f64 v[86:87], v[4:5], v[86:87]
	v_add_f64 v[14:15], v[102:103], v[118:119]
	v_mul_f64 v[236:237], v[48:49], s[52:53]
	v_fma_f64 v[246:247], v[16:17], s[38:39], -v[244:245]
	v_add_f64 v[86:87], v[252:253], v[86:87]
	v_accvgpr_read_b32 v2, a12
	v_add_f64 v[12:13], v[84:85], v[82:83]
	v_mul_f64 v[170:171], v[46:47], s[30:31]
	v_fma_f64 v[242:243], v[14:15], s[20:21], -v[236:237]
	v_add_f64 v[86:87], v[246:247], v[86:87]
	v_accvgpr_read_b32 v3, a13
	v_add_f64 v[10:11], v[50:51], v[74:75]
	v_mul_f64 v[126:127], v[32:33], s[48:49]
	v_fma_f64 v[172:173], v[12:13], s[34:35], -v[170:171]
	v_add_f64 v[86:87], v[242:243], v[86:87]
	v_add_f64 v[24:25], v[202:203], -v[2:3]
	v_add_f64 v[8:9], v[70:71], v[72:73]
	v_mul_f64 v[116:117], v[30:31], s[26:27]
	v_fma_f64 v[128:129], v[10:11], s[22:23], -v[126:127]
	v_add_f64 v[86:87], v[172:173], v[86:87]
	v_add_f64 v[6:7], v[26:27], v[40:41]
	v_mul_f64 v[22:23], v[24:25], s[58:59]
	v_fma_f64 v[120:121], v[8:9], s[28:29], -v[116:117]
	v_add_f64 v[86:87], v[128:129], v[86:87]
	v_fma_f64 v[2:3], v[6:7], s[24:25], -v[22:23]
	v_add_f64 v[86:87], v[120:121], v[86:87]
	v_fmac_f64_e32 v[100:101], s[42:43], v[20:21]
	v_add_f64 v[2:3], v[2:3], v[86:87]
	v_fmac_f64_e32 v[250:251], s[14:15], v[18:19]
	v_add_f64 v[86:87], v[4:5], v[100:101]
	v_mul_f64 v[44:45], v[238:239], s[36:37]
	v_fmac_f64_e32 v[244:245], s[38:39], v[16:17]
	v_add_f64 v[86:87], v[250:251], v[86:87]
	v_mul_f64 v[250:251], v[94:95], s[48:49]
	v_fma_f64 v[76:77], v[20:21], s[38:39], -v[44:45]
	v_fmac_f64_e32 v[44:45], s[38:39], v[20:21]
	v_fmac_f64_e32 v[236:237], s[20:21], v[14:15]
	v_add_f64 v[86:87], v[244:245], v[86:87]
	v_mul_f64 v[244:245], v[92:93], s[18:19]
	v_fma_f64 v[252:253], v[18:19], s[22:23], -v[250:251]
	v_fmac_f64_e32 v[250:251], s[22:23], v[18:19]
	v_add_f64 v[44:45], v[4:5], v[44:45]
	v_fmac_f64_e32 v[170:171], s[34:35], v[12:13]
	v_add_f64 v[86:87], v[236:237], v[86:87]
	v_mul_f64 v[242:243], v[48:49], s[56:57]
	v_fma_f64 v[246:247], v[16:17], s[24:25], -v[244:245]
	v_add_f64 v[76:77], v[4:5], v[76:77]
	v_fmac_f64_e32 v[244:245], s[24:25], v[16:17]
	v_add_f64 v[44:45], v[250:251], v[44:45]
	v_mul_f64 v[52:53], v[238:239], s[30:31]
	v_fmac_f64_e32 v[126:127], s[22:23], v[10:11]
	v_add_f64 v[86:87], v[170:171], v[86:87]
	v_mul_f64 v[170:171], v[46:47], s[4:5]
	v_fma_f64 v[236:237], v[14:15], s[34:35], -v[242:243]
	v_add_f64 v[76:77], v[252:253], v[76:77]
	v_fmac_f64_e32 v[242:243], s[34:35], v[14:15]
	v_add_f64 v[44:45], v[244:245], v[44:45]
	v_mul_f64 v[250:251], v[94:95], s[44:45]
	v_fma_f64 v[80:81], v[20:21], s[34:35], -v[52:53]
	v_fmac_f64_e32 v[52:53], s[34:35], v[20:21]
	v_fmac_f64_e32 v[116:117], s[28:29], v[8:9]
	v_add_f64 v[86:87], v[126:127], v[86:87]
	v_mul_f64 v[126:127], v[32:33], s[40:41]
	v_fma_f64 v[172:173], v[12:13], s[14:15], -v[170:171]
	v_add_f64 v[76:77], v[246:247], v[76:77]
	v_fmac_f64_e32 v[170:171], s[14:15], v[12:13]
	v_add_f64 v[44:45], v[242:243], v[44:45]
	v_mul_f64 v[246:247], v[92:93], s[4:5]
	v_fma_f64 v[252:253], v[18:19], s[28:29], -v[250:251]
	v_add_f64 v[80:81], v[4:5], v[80:81]
	v_fmac_f64_e32 v[250:251], s[28:29], v[18:19]
	v_add_f64 v[52:53], v[4:5], v[52:53]
	v_fmac_f64_e32 v[22:23], s[24:25], v[6:7]
	v_add_f64 v[86:87], v[116:117], v[86:87]
	v_mul_f64 v[116:117], v[30:31], s[52:53]
	v_fma_f64 v[128:129], v[10:11], s[42:43], -v[126:127]
	v_add_f64 v[76:77], v[236:237], v[76:77]
	v_fmac_f64_e32 v[126:127], s[42:43], v[10:11]
	v_add_f64 v[44:45], v[170:171], v[44:45]
	v_mul_f64 v[170:171], v[48:49], s[36:37]
	v_fma_f64 v[244:245], v[16:17], s[14:15], -v[246:247]
	v_add_f64 v[80:81], v[252:253], v[80:81]
	v_fmac_f64_e32 v[246:247], s[14:15], v[16:17]
	v_add_f64 v[52:53], v[250:251], v[52:53]
	v_mul_f64 v[36:37], v[238:239], s[26:27]
	v_add_f64 v[22:23], v[22:23], v[86:87]
	v_mul_f64 v[86:87], v[24:25], s[26:27]
	v_fma_f64 v[120:121], v[8:9], s[20:21], -v[116:117]
	v_add_f64 v[76:77], v[172:173], v[76:77]
	v_fmac_f64_e32 v[116:117], s[20:21], v[8:9]
	v_add_f64 v[44:45], v[126:127], v[44:45]
	v_mul_f64 v[126:127], v[46:47], s[58:59]
	v_fma_f64 v[172:173], v[14:15], s[38:39], -v[170:171]
	v_add_f64 v[80:81], v[244:245], v[80:81]
	v_fmac_f64_e32 v[170:171], s[38:39], v[14:15]
	v_add_f64 v[52:53], v[246:247], v[52:53]
	v_mul_f64 v[250:251], v[94:95], s[46:47]
	v_fma_f64 v[38:39], v[20:21], s[28:29], -v[36:37]
	v_fmac_f64_e32 v[36:37], s[28:29], v[20:21]
	v_fma_f64 v[100:101], v[6:7], s[28:29], -v[86:87]
	v_add_f64 v[76:77], v[128:129], v[76:77]
	v_fmac_f64_e32 v[86:87], s[28:29], v[6:7]
	v_add_f64 v[44:45], v[116:117], v[44:45]
	v_mul_f64 v[116:117], v[32:33], s[10:11]
	v_fma_f64 v[128:129], v[12:13], s[24:25], -v[126:127]
	v_add_f64 v[80:81], v[172:173], v[80:81]
	v_fmac_f64_e32 v[126:127], s[24:25], v[12:13]
	v_add_f64 v[52:53], v[170:171], v[52:53]
	v_mul_f64 v[170:171], v[92:93], s[52:53]
	v_fma_f64 v[252:253], v[18:19], s[38:39], -v[250:251]
	v_fmac_f64_e32 v[250:251], s[38:39], v[18:19]
	v_add_f64 v[36:37], v[4:5], v[36:37]
	v_mul_f64 v[114:115], v[238:239], s[18:19]
	v_add_f64 v[76:77], v[120:121], v[76:77]
	v_add_f64 v[242:243], v[86:87], v[44:45]
	v_mul_f64 v[86:87], v[30:31], s[40:41]
	v_fma_f64 v[120:121], v[10:11], s[20:21], -v[116:117]
	v_add_f64 v[80:81], v[128:129], v[80:81]
	v_fmac_f64_e32 v[116:117], s[20:21], v[10:11]
	v_add_f64 v[52:53], v[126:127], v[52:53]
	v_mul_f64 v[126:127], v[48:49], s[12:13]
	v_fma_f64 v[172:173], v[16:17], s[20:21], -v[170:171]
	v_add_f64 v[38:39], v[4:5], v[38:39]
	v_fmac_f64_e32 v[170:171], s[20:21], v[16:17]
	v_add_f64 v[36:37], v[250:251], v[36:37]
	v_mul_f64 v[250:251], v[94:95], s[40:41]
	v_fma_f64 v[34:35], v[20:21], s[24:25], -v[114:115]
	v_add_f64 v[236:237], v[100:101], v[76:77]
	v_mul_f64 v[44:45], v[24:25], s[48:49]
	v_fma_f64 v[100:101], v[8:9], s[42:43], -v[86:87]
	v_add_f64 v[80:81], v[120:121], v[80:81]
	v_fmac_f64_e32 v[86:87], s[42:43], v[8:9]
	v_add_f64 v[52:53], v[116:117], v[52:53]
	v_mul_f64 v[116:117], v[46:47], s[40:41]
	v_fma_f64 v[128:129], v[14:15], s[22:23], -v[126:127]
	v_add_f64 v[38:39], v[252:253], v[38:39]
	v_fmac_f64_e32 v[126:127], s[22:23], v[14:15]
	v_add_f64 v[36:37], v[170:171], v[36:37]
	v_mul_f64 v[170:171], v[92:93], s[44:45]
	v_fma_f64 v[252:253], v[18:19], s[42:43], -v[250:251]
	v_add_f64 v[34:35], v[4:5], v[34:35]
	v_fma_f64 v[76:77], v[6:7], s[22:23], -v[44:45]
	v_add_f64 v[80:81], v[100:101], v[80:81]
	v_add_f64 v[52:53], v[86:87], v[52:53]
	v_mul_f64 v[86:87], v[32:33], s[58:59]
	v_fma_f64 v[120:121], v[12:13], s[42:43], -v[116:117]
	v_add_f64 v[38:39], v[172:173], v[38:39]
	v_fmac_f64_e32 v[116:117], s[42:43], v[12:13]
	v_add_f64 v[36:37], v[126:127], v[36:37]
	v_mul_f64 v[126:127], v[48:49], s[50:51]
	v_fma_f64 v[172:173], v[16:17], s[28:29], -v[170:171]
	v_add_f64 v[34:35], v[252:253], v[34:35]
	v_add_f64 v[244:245], v[76:77], v[80:81]
	v_fmac_f64_e32 v[44:45], s[22:23], v[6:7]
	v_mul_f64 v[76:77], v[30:31], s[4:5]
	v_fma_f64 v[100:101], v[10:11], s[24:25], -v[86:87]
	v_add_f64 v[38:39], v[128:129], v[38:39]
	v_fmac_f64_e32 v[86:87], s[24:25], v[10:11]
	v_add_f64 v[36:37], v[116:117], v[36:37]
	v_mul_f64 v[116:117], v[46:47], s[12:13]
	v_fma_f64 v[128:129], v[14:15], s[14:15], -v[126:127]
	v_add_f64 v[34:35], v[172:173], v[34:35]
	v_add_f64 v[246:247], v[44:45], v[52:53]
	v_mul_f64 v[44:45], v[24:25], s[30:31]
	v_fma_f64 v[80:81], v[8:9], s[14:15], -v[76:77]
	v_add_f64 v[38:39], v[120:121], v[38:39]
	v_fmac_f64_e32 v[76:77], s[14:15], v[8:9]
	v_add_f64 v[36:37], v[86:87], v[36:37]
	v_mul_f64 v[86:87], v[32:33], s[36:37]
	v_fma_f64 v[120:121], v[12:13], s[22:23], -v[116:117]
	v_add_f64 v[34:35], v[128:129], v[34:35]
	v_fma_f64 v[52:53], v[6:7], s[34:35], -v[44:45]
	v_add_f64 v[38:39], v[100:101], v[38:39]
	v_fmac_f64_e32 v[44:45], s[34:35], v[6:7]
	v_add_f64 v[36:37], v[76:77], v[36:37]
	v_mul_f64 v[76:77], v[30:31], s[56:57]
	v_fma_f64 v[100:101], v[10:11], s[38:39], -v[86:87]
	v_add_f64 v[34:35], v[120:121], v[34:35]
	v_add_f64 v[38:39], v[80:81], v[38:39]
	;; [unrolled: 1-line block ×3, first 2 shown]
	v_mul_f64 v[44:45], v[24:25], s[52:53]
	v_fma_f64 v[80:81], v[8:9], s[34:35], -v[76:77]
	v_add_f64 v[34:35], v[100:101], v[34:35]
	v_add_f64 v[38:39], v[52:53], v[38:39]
	v_fma_f64 v[52:53], v[6:7], s[20:21], -v[44:45]
	v_add_f64 v[34:35], v[80:81], v[34:35]
	v_fmac_f64_e32 v[114:115], s[24:25], v[20:21]
	v_add_f64 v[34:35], v[52:53], v[34:35]
	v_fmac_f64_e32 v[250:251], s[42:43], v[18:19]
	v_add_f64 v[52:53], v[4:5], v[114:115]
	v_mov_b64_e32 v[144:145], v[202:203]
	v_mul_f64 v[202:203], v[238:239], s[12:13]
	v_fmac_f64_e32 v[170:171], s[28:29], v[16:17]
	v_add_f64 v[52:53], v[250:251], v[52:53]
	v_mul_f64 v[250:251], v[94:95], s[30:31]
	v_mov_b64_e32 v[148:149], v[210:211]
	v_fma_f64 v[210:211], v[20:21], s[22:23], -v[202:203]
	v_fmac_f64_e32 v[126:127], s[14:15], v[14:15]
	v_add_f64 v[52:53], v[170:171], v[52:53]
	v_mul_f64 v[170:171], v[92:93], s[54:55]
	v_fma_f64 v[252:253], v[18:19], s[34:35], -v[250:251]
	v_add_f64 v[210:211], v[4:5], v[210:211]
	v_fmac_f64_e32 v[116:117], s[22:23], v[12:13]
	v_add_f64 v[52:53], v[126:127], v[52:53]
	v_mul_f64 v[126:127], v[48:49], s[44:45]
	v_fma_f64 v[172:173], v[16:17], s[42:43], -v[170:171]
	v_add_f64 v[210:211], v[252:253], v[210:211]
	;; [unrolled: 5-line block ×5, first 2 shown]
	v_add_f64 v[44:45], v[44:45], v[52:53]
	v_mul_f64 v[52:53], v[24:25], s[36:37]
	v_fma_f64 v[86:87], v[8:9], s[24:25], -v[80:81]
	v_add_f64 v[114:115], v[114:115], v[120:121]
	v_fma_f64 v[76:77], v[6:7], s[38:39], -v[52:53]
	v_add_f64 v[86:87], v[86:87], v[114:115]
	v_fmac_f64_e32 v[202:203], s[22:23], v[20:21]
	v_accvgpr_write_b32 a6, v156
	v_add_f64 v[76:77], v[76:77], v[86:87]
	v_fmac_f64_e32 v[250:251], s[34:35], v[18:19]
	v_add_f64 v[86:87], v[4:5], v[202:203]
	v_accvgpr_write_b32 a7, v157
	v_mul_f64 v[156:157], v[238:239], s[10:11]
	v_fmac_f64_e32 v[170:171], s[42:43], v[16:17]
	v_add_f64 v[86:87], v[250:251], v[86:87]
	v_mul_f64 v[250:251], v[94:95], s[18:19]
	v_fma_f64 v[160:161], v[20:21], s[20:21], -v[156:157]
	v_fmac_f64_e32 v[126:127], s[28:29], v[14:15]
	v_add_f64 v[86:87], v[170:171], v[86:87]
	v_mul_f64 v[202:203], v[92:93], s[30:31]
	v_fma_f64 v[252:253], v[18:19], s[24:25], -v[250:251]
	v_add_f64 v[160:161], v[4:5], v[160:161]
	v_fmac_f64_e32 v[116:117], s[20:21], v[12:13]
	v_add_f64 v[86:87], v[126:127], v[86:87]
	v_mul_f64 v[170:171], v[48:49], s[40:41]
	v_fma_f64 v[210:211], v[16:17], s[34:35], -v[202:203]
	v_add_f64 v[160:161], v[252:253], v[160:161]
	;; [unrolled: 5-line block ×5, first 2 shown]
	v_add_f64 v[52:53], v[52:53], v[80:81]
	v_mul_f64 v[80:81], v[24:25], s[50:51]
	v_fma_f64 v[114:115], v[8:9], s[22:23], -v[100:101]
	v_add_f64 v[120:121], v[120:121], v[128:129]
	v_fma_f64 v[86:87], v[6:7], s[14:15], -v[80:81]
	v_add_f64 v[114:115], v[114:115], v[120:121]
	v_fmac_f64_e32 v[156:157], s[20:21], v[20:21]
	v_add_f64 v[86:87], v[86:87], v[114:115]
	v_fmac_f64_e32 v[250:251], s[24:25], v[18:19]
	;; [unrolled: 2-line block ×7, first 2 shown]
	v_add_f64 v[114:115], v[116:117], v[114:115]
	v_mul_f64 v[160:161], v[238:239], s[4:5]
	v_fmac_f64_e32 v[80:81], s[14:15], v[6:7]
	v_add_f64 v[100:101], v[100:101], v[114:115]
	v_mul_f64 v[24:25], v[24:25], s[40:41]
	v_fma_f64 v[170:171], v[20:21], s[14:15], -v[160:161]
	v_fmac_f64_e32 v[160:161], s[14:15], v[20:21]
	v_add_f64 v[80:81], v[80:81], v[100:101]
	v_fma_f64 v[100:101], v[6:7], s[42:43], -v[24:25]
	v_add_f64 v[170:171], v[4:5], v[170:171]
	v_fmac_f64_e32 v[24:25], s[42:43], v[6:7]
	v_add_f64 v[6:7], v[4:5], v[160:161]
	v_add_f64 v[4:5], v[4:5], v[200:201]
	;; [unrolled: 1-line block ×8, first 2 shown]
	v_mul_f64 v[94:95], v[94:95], s[10:11]
	v_add_f64 v[4:5], v[4:5], v[26:27]
	v_mul_f64 v[92:93], v[92:93], s[12:13]
	v_fma_f64 v[156:157], v[18:19], s[20:21], -v[94:95]
	v_fmac_f64_e32 v[94:95], s[20:21], v[18:19]
	v_add_f64 v[4:5], v[4:5], v[40:41]
	v_mul_f64 v[48:49], v[48:49], s[18:19]
	v_fma_f64 v[128:129], v[16:17], s[22:23], -v[92:93]
	v_fmac_f64_e32 v[92:93], s[22:23], v[16:17]
	v_add_f64 v[6:7], v[94:95], v[6:7]
	v_add_f64 v[4:5], v[4:5], v[72:73]
	v_mul_f64 v[46:47], v[46:47], s[26:27]
	v_fma_f64 v[126:127], v[14:15], s[24:25], -v[48:49]
	v_fmac_f64_e32 v[48:49], s[24:25], v[14:15]
	v_add_f64 v[6:7], v[92:93], v[6:7]
	v_add_f64 v[4:5], v[4:5], v[74:75]
	v_mul_f64 v[32:33], v[32:33], s[30:31]
	v_fma_f64 v[120:121], v[12:13], s[28:29], -v[46:47]
	v_add_f64 v[156:157], v[156:157], v[170:171]
	v_fmac_f64_e32 v[46:47], s[28:29], v[12:13]
	v_add_f64 v[6:7], v[48:49], v[6:7]
	v_add_f64 v[4:5], v[4:5], v[82:83]
	v_mul_f64 v[30:31], v[30:31], s[36:37]
	v_fma_f64 v[116:117], v[10:11], s[34:35], -v[32:33]
	v_add_f64 v[128:129], v[128:129], v[156:157]
	v_fmac_f64_e32 v[32:33], s[34:35], v[10:11]
	v_add_f64 v[6:7], v[46:47], v[6:7]
	v_add_f64 v[4:5], v[4:5], v[118:119]
	v_fma_f64 v[114:115], v[8:9], s[38:39], -v[30:31]
	v_add_f64 v[126:127], v[126:127], v[128:129]
	v_fmac_f64_e32 v[30:31], s[38:39], v[8:9]
	v_accvgpr_read_b32 v160, a4
	v_add_f64 v[6:7], v[32:33], v[6:7]
	v_add_f64 v[4:5], v[4:5], v[122:123]
	v_lshlrev_b32_sdwa v8, v42, v206 dst_sel:DWORD dst_unused:UNUSED_PAD src0_sel:DWORD src1_sel:BYTE_0
	v_add_f64 v[120:121], v[120:121], v[126:127]
	v_add_f64 v[6:7], v[30:31], v[6:7]
	;; [unrolled: 1-line block ×3, first 2 shown]
	v_add3_u32 v8, 0, v8, v160
	v_accvgpr_read_b32 v157, a7
	v_add_f64 v[116:117], v[116:117], v[120:121]
	v_add_f64 v[6:7], v[24:25], v[6:7]
	v_add_f64 v[4:5], v[4:5], v[208:209]
	v_add_u32_e32 v9, 0x800, v8
	v_mov_b64_e32 v[252:253], v[182:183]
	v_mov_b64_e32 v[210:211], v[148:149]
	;; [unrolled: 1-line block ×4, first 2 shown]
	v_accvgpr_read_b32 v156, a6
	v_add_f64 v[114:115], v[114:115], v[116:117]
	ds_write2_b64 v9, v[4:5], v[6:7] offset0:220 offset1:227
	ds_write2_b64 v9, v[80:81], v[52:53] offset0:234 offset1:241
	;; [unrolled: 1-line block ×3, first 2 shown]
	v_add_u32_e32 v4, 0x1000, v8
	v_add_f64 v[100:101], v[100:101], v[114:115]
	ds_write2_b64 v4, v[246:247], v[242:243] offset0:6 offset1:13
	ds_write2_b64 v4, v[22:23], v[2:3] offset0:20 offset1:27
	;; [unrolled: 1-line block ×5, first 2 shown]
	ds_write_b64 v8, v[100:101] offset:4704
.LBB0_18:
	s_or_b64 exec, exec, s[60:61]
	v_accvgpr_read_b32 v4, a46
	v_accvgpr_read_b32 v5, a47
	;; [unrolled: 1-line block ×3, first 2 shown]
	v_add_f64 v[2:3], v[178:179], v[4:5]
	v_accvgpr_read_b32 v43, a51
	v_accvgpr_read_b32 v77, a49
	v_add_f64 v[2:3], v[2:3], v[42:43]
	v_accvgpr_read_b32 v76, a48
	v_accvgpr_read_b32 v53, a45
	;; [unrolled: 3-line block ×3, first 2 shown]
	v_add_f64 v[2:3], v[2:3], v[52:53]
	v_accvgpr_read_b32 v48, a42
	v_add_f64 v[2:3], v[2:3], v[48:49]
	v_add_f64 v[2:3], v[2:3], v[194:195]
	;; [unrolled: 1-line block ×13, first 2 shown]
	v_add_f64 v[4:5], v[188:189], -v[98:99]
	v_mul_f64 v[6:7], v[2:3], s[14:15]
	v_mul_f64 v[10:11], v[2:3], s[20:21]
	;; [unrolled: 1-line block ×8, first 2 shown]
	v_fma_f64 v[8:9], s[50:51], v[4:5], v[6:7]
	v_fmac_f64_e32 v[6:7], s[4:5], v[4:5]
	v_fma_f64 v[12:13], s[52:53], v[4:5], v[10:11]
	v_fmac_f64_e32 v[10:11], s[10:11], v[4:5]
	;; [unrolled: 2-line block ×8, first 2 shown]
	v_add_f64 v[4:5], v[42:43], v[230:231]
	v_add_f64 v[42:43], v[196:197], -v[228:229]
	v_mul_f64 v[44:45], v[4:5], s[20:21]
	v_add_f64 v[6:7], v[178:179], v[6:7]
	v_fma_f64 v[46:47], s[52:53], v[42:43], v[44:45]
	v_fmac_f64_e32 v[44:45], s[10:11], v[42:43]
	v_add_f64 v[8:9], v[178:179], v[8:9]
	v_add_f64 v[6:7], v[44:45], v[6:7]
	v_mul_f64 v[44:45], v[4:5], s[24:25]
	v_add_f64 v[10:11], v[178:179], v[10:11]
	v_add_f64 v[8:9], v[46:47], v[8:9]
	v_fma_f64 v[46:47], s[58:59], v[42:43], v[44:45]
	v_fmac_f64_e32 v[44:45], s[18:19], v[42:43]
	v_add_f64 v[12:13], v[178:179], v[12:13]
	v_add_f64 v[10:11], v[44:45], v[10:11]
	v_mul_f64 v[44:45], v[4:5], s[34:35]
	v_add_f64 v[14:15], v[178:179], v[14:15]
	;; [unrolled: 7-line block ×6, first 2 shown]
	v_add_f64 v[32:33], v[46:47], v[32:33]
	v_fma_f64 v[46:47], s[12:13], v[42:43], v[44:45]
	v_fmac_f64_e32 v[44:45], s[48:49], v[42:43]
	v_mul_f64 v[4:5], v[4:5], s[14:15]
	v_add_f64 v[2:3], v[178:179], v[2:3]
	v_add_f64 v[34:35], v[44:45], v[34:35]
	v_fma_f64 v[44:45], s[4:5], v[42:43], v[4:5]
	v_fmac_f64_e32 v[4:5], s[50:51], v[42:43]
	v_add_f64 v[38:39], v[178:179], v[38:39]
	v_add_f64 v[2:3], v[4:5], v[2:3]
	;; [unrolled: 1-line block ×5, first 2 shown]
	v_add_f64 v[42:43], v[190:191], -v[224:225]
	v_mul_f64 v[44:45], v[4:5], s[22:23]
	v_add_f64 v[36:37], v[46:47], v[36:37]
	v_fma_f64 v[46:47], s[48:49], v[42:43], v[44:45]
	v_fmac_f64_e32 v[44:45], s[12:13], v[42:43]
	v_add_f64 v[6:7], v[44:45], v[6:7]
	v_mul_f64 v[44:45], v[4:5], s[34:35]
	v_add_f64 v[8:9], v[46:47], v[8:9]
	v_fma_f64 v[46:47], s[56:57], v[42:43], v[44:45]
	v_fmac_f64_e32 v[44:45], s[30:31], v[42:43]
	v_add_f64 v[10:11], v[44:45], v[10:11]
	v_mul_f64 v[44:45], v[4:5], s[42:43]
	v_add_f64 v[12:13], v[46:47], v[12:13]
	v_fma_f64 v[46:47], s[40:41], v[42:43], v[44:45]
	v_fmac_f64_e32 v[44:45], s[54:55], v[42:43]
	v_add_f64 v[14:15], v[44:45], v[14:15]
	v_mul_f64 v[44:45], v[4:5], s[28:29]
	v_add_f64 v[16:17], v[46:47], v[16:17]
	v_fma_f64 v[46:47], s[26:27], v[42:43], v[44:45]
	v_fmac_f64_e32 v[44:45], s[44:45], v[42:43]
	v_add_f64 v[18:19], v[44:45], v[18:19]
	v_mul_f64 v[44:45], v[4:5], s[20:21]
	v_add_f64 v[20:21], v[46:47], v[20:21]
	v_fma_f64 v[46:47], s[10:11], v[42:43], v[44:45]
	v_fmac_f64_e32 v[44:45], s[52:53], v[42:43]
	v_add_f64 v[22:23], v[44:45], v[22:23]
	v_mul_f64 v[44:45], v[4:5], s[14:15]
	v_add_f64 v[24:25], v[46:47], v[24:25]
	v_fma_f64 v[46:47], s[50:51], v[42:43], v[44:45]
	v_fmac_f64_e32 v[44:45], s[4:5], v[42:43]
	v_add_f64 v[30:31], v[44:45], v[30:31]
	v_mul_f64 v[44:45], v[4:5], s[24:25]
	v_add_f64 v[32:33], v[46:47], v[32:33]
	v_fma_f64 v[46:47], s[58:59], v[42:43], v[44:45]
	v_fmac_f64_e32 v[44:45], s[18:19], v[42:43]
	v_mul_f64 v[4:5], v[4:5], s[38:39]
	v_add_f64 v[34:35], v[44:45], v[34:35]
	v_fma_f64 v[44:45], s[46:47], v[42:43], v[4:5]
	v_fmac_f64_e32 v[4:5], s[36:37], v[42:43]
	v_add_f64 v[2:3], v[4:5], v[2:3]
	v_add_f64 v[4:5], v[52:53], v[222:223]
	v_add_f64 v[38:39], v[44:45], v[38:39]
	v_add_f64 v[42:43], v[180:181], -v[220:221]
	v_mul_f64 v[44:45], v[4:5], s[24:25]
	v_add_f64 v[36:37], v[46:47], v[36:37]
	v_fma_f64 v[46:47], s[58:59], v[42:43], v[44:45]
	v_fmac_f64_e32 v[44:45], s[18:19], v[42:43]
	v_add_f64 v[6:7], v[44:45], v[6:7]
	v_mul_f64 v[44:45], v[4:5], s[42:43]
	v_add_f64 v[8:9], v[46:47], v[8:9]
	v_fma_f64 v[46:47], s[54:55], v[42:43], v[44:45]
	v_fmac_f64_e32 v[44:45], s[40:41], v[42:43]
	v_add_f64 v[10:11], v[44:45], v[10:11]
	v_mul_f64 v[44:45], v[4:5], s[28:29]
	v_add_f64 v[12:13], v[46:47], v[12:13]
	v_fma_f64 v[46:47], s[26:27], v[42:43], v[44:45]
	v_fmac_f64_e32 v[44:45], s[44:45], v[42:43]
	v_add_f64 v[14:15], v[44:45], v[14:15]
	v_mul_f64 v[44:45], v[4:5], s[14:15]
	v_add_f64 v[16:17], v[46:47], v[16:17]
	v_fma_f64 v[46:47], s[4:5], v[42:43], v[44:45]
	v_fmac_f64_e32 v[44:45], s[50:51], v[42:43]
	v_add_f64 v[18:19], v[44:45], v[18:19]
	v_mul_f64 v[44:45], v[4:5], s[22:23]
	v_add_f64 v[20:21], v[46:47], v[20:21]
	v_fma_f64 v[46:47], s[48:49], v[42:43], v[44:45]
	v_fmac_f64_e32 v[44:45], s[12:13], v[42:43]
	v_add_f64 v[22:23], v[44:45], v[22:23]
	v_mul_f64 v[44:45], v[4:5], s[38:39]
	v_add_f64 v[24:25], v[46:47], v[24:25]
	v_fma_f64 v[46:47], s[46:47], v[42:43], v[44:45]
	v_fmac_f64_e32 v[44:45], s[36:37], v[42:43]
	v_add_f64 v[30:31], v[44:45], v[30:31]
	v_mul_f64 v[44:45], v[4:5], s[34:35]
	v_add_f64 v[32:33], v[46:47], v[32:33]
	v_fma_f64 v[46:47], s[30:31], v[42:43], v[44:45]
	v_fmac_f64_e32 v[44:45], s[56:57], v[42:43]
	v_mul_f64 v[4:5], v[4:5], s[20:21]
	v_add_f64 v[34:35], v[44:45], v[34:35]
	v_fma_f64 v[44:45], s[10:11], v[42:43], v[4:5]
	v_fmac_f64_e32 v[4:5], s[52:53], v[42:43]
	v_add_f64 v[2:3], v[4:5], v[2:3]
	v_add_f64 v[4:5], v[48:49], v[218:219]
	v_add_f64 v[38:39], v[44:45], v[38:39]
	;; [unrolled: 42-line block ×5, first 2 shown]
	v_add_f64 v[42:43], v[146:147], -v[134:135]
	v_mul_f64 v[44:45], v[4:5], s[42:43]
	v_add_f64 v[36:37], v[46:47], v[36:37]
	v_fma_f64 v[46:47], s[54:55], v[42:43], v[44:45]
	v_fmac_f64_e32 v[44:45], s[40:41], v[42:43]
	v_add_f64 v[132:133], v[44:45], v[6:7]
	v_mul_f64 v[6:7], v[4:5], s[14:15]
	v_add_f64 v[134:135], v[46:47], v[8:9]
	v_fma_f64 v[8:9], s[4:5], v[42:43], v[6:7]
	v_fmac_f64_e32 v[6:7], s[50:51], v[42:43]
	v_add_f64 v[146:147], v[6:7], v[10:11]
	;; [unrolled: 5-line block ×6, first 2 shown]
	v_mul_f64 v[6:7], v[4:5], s[28:29]
	v_add_f64 v[184:185], v[8:9], v[32:33]
	v_fma_f64 v[8:9], s[44:45], v[42:43], v[6:7]
	v_fmac_f64_e32 v[6:7], s[26:27], v[42:43]
	v_mul_f64 v[4:5], v[4:5], s[24:25]
	v_add_f64 v[190:191], v[6:7], v[34:35]
	v_fma_f64 v[6:7], s[18:19], v[42:43], v[4:5]
	v_fmac_f64_e32 v[4:5], s[58:59], v[42:43]
	v_add_f64 v[194:195], v[4:5], v[2:3]
	v_accvgpr_read_b32 v4, a22
	v_accvgpr_read_b32 v5, a23
	;; [unrolled: 1-line block ×3, first 2 shown]
	v_add_f64 v[2:3], v[136:137], v[4:5]
	v_accvgpr_read_b32 v42, a24
	v_accvgpr_read_b32 v81, a19
	v_add_f64 v[2:3], v[2:3], v[42:43]
	v_accvgpr_read_b32 v80, a18
	v_accvgpr_read_b32 v53, a11
	v_add_f64 v[2:3], v[2:3], v[80:81]
	v_accvgpr_read_b32 v52, a10
	v_add_f64 v[2:3], v[2:3], v[52:53]
	;; [unrolled: 2-line block ×3, first 2 shown]
	v_accvgpr_read_b32 v76, a14
	v_accvgpr_read_b32 v49, a9
	v_add_f64 v[2:3], v[2:3], v[76:77]
	v_accvgpr_read_b32 v48, a8
	v_add_f64 v[2:3], v[2:3], v[48:49]
	v_add_f64 v[2:3], v[2:3], v[156:157]
	;; [unrolled: 1-line block ×12, first 2 shown]
	v_add_f64 v[4:5], v[198:199], -v[88:89]
	v_mul_f64 v[6:7], v[2:3], s[14:15]
	v_mul_f64 v[10:11], v[2:3], s[20:21]
	;; [unrolled: 1-line block ×8, first 2 shown]
	v_add_f64 v[188:189], v[8:9], v[36:37]
	v_fma_f64 v[8:9], s[50:51], v[4:5], v[6:7]
	v_fmac_f64_e32 v[6:7], s[4:5], v[4:5]
	v_fma_f64 v[12:13], s[52:53], v[4:5], v[10:11]
	v_fmac_f64_e32 v[10:11], s[10:11], v[4:5]
	;; [unrolled: 2-line block ×8, first 2 shown]
	v_add_f64 v[4:5], v[42:43], v[54:55]
	v_add_f64 v[42:43], v[166:167], -v[96:97]
	v_mul_f64 v[44:45], v[4:5], s[20:21]
	v_add_f64 v[6:7], v[136:137], v[6:7]
	v_fma_f64 v[46:47], s[52:53], v[42:43], v[44:45]
	v_fmac_f64_e32 v[44:45], s[10:11], v[42:43]
	v_add_f64 v[8:9], v[136:137], v[8:9]
	v_add_f64 v[6:7], v[44:45], v[6:7]
	v_mul_f64 v[44:45], v[4:5], s[24:25]
	v_add_f64 v[10:11], v[136:137], v[10:11]
	v_add_f64 v[8:9], v[46:47], v[8:9]
	v_fma_f64 v[46:47], s[58:59], v[42:43], v[44:45]
	v_fmac_f64_e32 v[44:45], s[18:19], v[42:43]
	v_add_f64 v[12:13], v[136:137], v[12:13]
	v_add_f64 v[10:11], v[44:45], v[10:11]
	v_mul_f64 v[44:45], v[4:5], s[34:35]
	v_add_f64 v[14:15], v[136:137], v[14:15]
	;; [unrolled: 7-line block ×6, first 2 shown]
	v_add_f64 v[32:33], v[46:47], v[32:33]
	v_fma_f64 v[46:47], s[12:13], v[42:43], v[44:45]
	v_fmac_f64_e32 v[44:45], s[48:49], v[42:43]
	v_mul_f64 v[4:5], v[4:5], s[14:15]
	v_add_f64 v[2:3], v[136:137], v[2:3]
	v_add_f64 v[34:35], v[44:45], v[34:35]
	v_fma_f64 v[44:45], s[4:5], v[42:43], v[4:5]
	v_fmac_f64_e32 v[4:5], s[50:51], v[42:43]
	v_add_f64 v[38:39], v[136:137], v[38:39]
	v_add_f64 v[2:3], v[4:5], v[2:3]
	;; [unrolled: 1-line block ×5, first 2 shown]
	v_add_f64 v[42:43], v[162:163], -v[56:57]
	v_mul_f64 v[44:45], v[4:5], s[22:23]
	v_add_f64 v[36:37], v[46:47], v[36:37]
	v_fma_f64 v[46:47], s[48:49], v[42:43], v[44:45]
	v_fmac_f64_e32 v[44:45], s[12:13], v[42:43]
	v_add_f64 v[6:7], v[44:45], v[6:7]
	v_mul_f64 v[44:45], v[4:5], s[34:35]
	v_add_f64 v[8:9], v[46:47], v[8:9]
	v_fma_f64 v[46:47], s[56:57], v[42:43], v[44:45]
	v_fmac_f64_e32 v[44:45], s[30:31], v[42:43]
	v_add_f64 v[10:11], v[44:45], v[10:11]
	v_mul_f64 v[44:45], v[4:5], s[42:43]
	v_add_f64 v[12:13], v[46:47], v[12:13]
	v_fma_f64 v[46:47], s[40:41], v[42:43], v[44:45]
	v_fmac_f64_e32 v[44:45], s[54:55], v[42:43]
	v_add_f64 v[14:15], v[44:45], v[14:15]
	v_mul_f64 v[44:45], v[4:5], s[28:29]
	v_add_f64 v[16:17], v[46:47], v[16:17]
	v_fma_f64 v[46:47], s[26:27], v[42:43], v[44:45]
	v_fmac_f64_e32 v[44:45], s[44:45], v[42:43]
	v_add_f64 v[18:19], v[44:45], v[18:19]
	v_mul_f64 v[44:45], v[4:5], s[20:21]
	v_add_f64 v[20:21], v[46:47], v[20:21]
	v_fma_f64 v[46:47], s[10:11], v[42:43], v[44:45]
	v_fmac_f64_e32 v[44:45], s[52:53], v[42:43]
	v_add_f64 v[22:23], v[44:45], v[22:23]
	v_mul_f64 v[44:45], v[4:5], s[14:15]
	v_add_f64 v[24:25], v[46:47], v[24:25]
	v_fma_f64 v[46:47], s[50:51], v[42:43], v[44:45]
	v_fmac_f64_e32 v[44:45], s[4:5], v[42:43]
	v_add_f64 v[30:31], v[44:45], v[30:31]
	v_mul_f64 v[44:45], v[4:5], s[24:25]
	v_add_f64 v[32:33], v[46:47], v[32:33]
	v_fma_f64 v[46:47], s[58:59], v[42:43], v[44:45]
	v_fmac_f64_e32 v[44:45], s[18:19], v[42:43]
	v_mul_f64 v[4:5], v[4:5], s[38:39]
	v_add_f64 v[34:35], v[44:45], v[34:35]
	v_fma_f64 v[44:45], s[46:47], v[42:43], v[4:5]
	v_fmac_f64_e32 v[4:5], s[36:37], v[42:43]
	v_add_f64 v[2:3], v[4:5], v[2:3]
	v_add_f64 v[4:5], v[52:53], v[62:63]
	v_add_f64 v[38:39], v[44:45], v[38:39]
	v_add_f64 v[42:43], v[158:159], -v[60:61]
	v_mul_f64 v[44:45], v[4:5], s[24:25]
	v_add_f64 v[36:37], v[46:47], v[36:37]
	v_fma_f64 v[46:47], s[58:59], v[42:43], v[44:45]
	v_fmac_f64_e32 v[44:45], s[18:19], v[42:43]
	v_add_f64 v[6:7], v[44:45], v[6:7]
	v_mul_f64 v[44:45], v[4:5], s[42:43]
	v_add_f64 v[8:9], v[46:47], v[8:9]
	v_fma_f64 v[46:47], s[54:55], v[42:43], v[44:45]
	v_fmac_f64_e32 v[44:45], s[40:41], v[42:43]
	v_add_f64 v[10:11], v[44:45], v[10:11]
	v_mul_f64 v[44:45], v[4:5], s[28:29]
	v_add_f64 v[12:13], v[46:47], v[12:13]
	v_fma_f64 v[46:47], s[26:27], v[42:43], v[44:45]
	v_fmac_f64_e32 v[44:45], s[44:45], v[42:43]
	v_add_f64 v[14:15], v[44:45], v[14:15]
	v_mul_f64 v[44:45], v[4:5], s[14:15]
	v_add_f64 v[16:17], v[46:47], v[16:17]
	v_fma_f64 v[46:47], s[4:5], v[42:43], v[44:45]
	v_fmac_f64_e32 v[44:45], s[50:51], v[42:43]
	v_add_f64 v[18:19], v[44:45], v[18:19]
	v_mul_f64 v[44:45], v[4:5], s[22:23]
	v_add_f64 v[20:21], v[46:47], v[20:21]
	v_fma_f64 v[46:47], s[48:49], v[42:43], v[44:45]
	v_fmac_f64_e32 v[44:45], s[12:13], v[42:43]
	v_add_f64 v[22:23], v[44:45], v[22:23]
	v_mul_f64 v[44:45], v[4:5], s[38:39]
	v_add_f64 v[24:25], v[46:47], v[24:25]
	v_fma_f64 v[46:47], s[46:47], v[42:43], v[44:45]
	v_fmac_f64_e32 v[44:45], s[36:37], v[42:43]
	v_add_f64 v[30:31], v[44:45], v[30:31]
	v_mul_f64 v[44:45], v[4:5], s[34:35]
	v_add_f64 v[32:33], v[46:47], v[32:33]
	v_fma_f64 v[46:47], s[30:31], v[42:43], v[44:45]
	v_fmac_f64_e32 v[44:45], s[56:57], v[42:43]
	v_mul_f64 v[4:5], v[4:5], s[20:21]
	v_add_f64 v[34:35], v[44:45], v[34:35]
	v_fma_f64 v[44:45], s[10:11], v[42:43], v[4:5]
	v_fmac_f64_e32 v[4:5], s[52:53], v[42:43]
	v_add_f64 v[2:3], v[4:5], v[2:3]
	v_add_f64 v[4:5], v[164:165], v[66:67]
	v_add_f64 v[38:39], v[44:45], v[38:39]
	;; [unrolled: 42-line block ×5, first 2 shown]
	v_add_f64 v[42:43], v[108:109], -v[104:105]
	v_mul_f64 v[44:45], v[4:5], s[42:43]
	v_add_f64 v[36:37], v[46:47], v[36:37]
	v_fma_f64 v[46:47], s[54:55], v[42:43], v[44:45]
	v_fmac_f64_e32 v[44:45], s[40:41], v[42:43]
	v_add_f64 v[44:45], v[44:45], v[6:7]
	v_mul_f64 v[6:7], v[4:5], s[14:15]
	v_add_f64 v[52:53], v[46:47], v[8:9]
	v_fma_f64 v[8:9], s[4:5], v[42:43], v[6:7]
	v_fmac_f64_e32 v[6:7], s[50:51], v[42:43]
	v_add_f64 v[80:81], v[6:7], v[10:11]
	;; [unrolled: 5-line block ×6, first 2 shown]
	v_mul_f64 v[6:7], v[4:5], s[28:29]
	v_accvgpr_read_b32 v136, a0
	v_add_f64 v[114:115], v[8:9], v[32:33]
	v_fma_f64 v[8:9], s[44:45], v[42:43], v[6:7]
	v_fmac_f64_e32 v[6:7], s[26:27], v[42:43]
	v_mul_f64 v[4:5], v[4:5], s[24:25]
	v_lshlrev_b32_e32 v54, 3, v136
	v_accvgpr_read_b32 v128, a1
	v_add_f64 v[34:35], v[6:7], v[34:35]
	v_fma_f64 v[6:7], s[18:19], v[42:43], v[4:5]
	v_fmac_f64_e32 v[4:5], s[58:59], v[42:43]
	v_add_u32_e32 v58, 0x800, v254
	v_add_u32_e32 v18, 0x400, v254
	v_lshlrev_b32_e32 v30, 3, v255
	v_add3_u32 v145, 0, v54, v160
	v_accvgpr_read_b32 v54, a2
	v_lshlrev_b32_e32 v60, 3, v128
	v_add_f64 v[36:37], v[8:9], v[36:37]
	v_add_f64 v[38:39], v[6:7], v[38:39]
	;; [unrolled: 1-line block ×3, first 2 shown]
	s_waitcnt lgkmcnt(0)
	; wave barrier
	s_waitcnt lgkmcnt(0)
	ds_read2_b64 v[2:5], v254 offset0:119 offset1:136
	ds_read2_b64 v[10:13], v254 offset0:221 offset1:238
	;; [unrolled: 1-line block ×6, first 2 shown]
	v_add3_u32 v144, 0, v30, v160
	ds_read2_b64 v[30:33], v254 offset0:153 offset1:170
	ds_read2_b64 v[46:49], v58 offset0:135 offset1:152
	ds_read_b64 v[152:153], v54
	v_accvgpr_read_b32 v54, a3
	v_add_u32_e32 v59, 0x1000, v254
	v_add3_u32 v159, 0, v60, v160
	ds_read_b64 v[154:155], v54
	ds_read_b64 v[156:157], v144
	;; [unrolled: 1-line block ×3, first 2 shown]
	ds_read2_b64 v[66:69], v58 offset0:33 offset1:50
	ds_read2_b64 v[54:57], v59 offset0:15 offset1:32
	ds_read_b64 v[142:143], v159
	ds_read2_b64 v[88:91], v254 offset0:187 offset1:204
	ds_read2_b64 v[92:95], v58 offset0:169 offset1:186
	;; [unrolled: 1-line block ×5, first 2 shown]
	s_waitcnt lgkmcnt(0)
	; wave barrier
	s_waitcnt lgkmcnt(0)
	ds_write2_b64 v28, v[236:237], v[134:135] offset1:7
	ds_write2_b64 v28, v[148:149], v[174:175] offset0:14 offset1:21
	ds_write2_b64 v28, v[178:179], v[182:183] offset0:28 offset1:35
	;; [unrolled: 1-line block ×7, first 2 shown]
	ds_write_b64 v28, v[132:133] offset:896
	ds_write2_b64 v29, v[196:197], v[52:53] offset1:7
	ds_write2_b64 v29, v[76:77], v[86:87] offset0:14 offset1:21
	ds_write2_b64 v29, v[104:105], v[108:109] offset0:28 offset1:35
	;; [unrolled: 1-line block ×7, first 2 shown]
	ds_write_b64 v29, v[44:45] offset:896
	s_and_saveexec_b64 s[4:5], s[0:1]
	s_cbranch_execz .LBB0_20
; %bb.19:
	v_accvgpr_read_b32 v34, a52
	v_accvgpr_read_b32 v35, a53
	;; [unrolled: 1-line block ×3, first 2 shown]
	v_add_f64 v[28:29], v[0:1], v[34:35]
	v_accvgpr_read_b32 v124, a32
	v_accvgpr_read_b32 v139, a27
	v_add_f64 v[28:29], v[28:29], v[124:125]
	v_accvgpr_read_b32 v138, a26
	v_accvgpr_read_b32 v149, a31
	;; [unrolled: 3-line block ×5, first 2 shown]
	v_add_f64 v[28:29], v[28:29], v[132:133]
	v_accvgpr_read_b32 v134, a20
	v_add_f64 v[28:29], v[28:29], v[134:135]
	v_accvgpr_read_b32 v127, a13
	v_add_f64 v[28:29], v[28:29], v[202:203]
	v_accvgpr_read_b32 v126, a12
	v_add_f64 v[28:29], v[28:29], v[126:127]
	v_add_f64 v[28:29], v[28:29], v[250:251]
	v_accvgpr_read_b32 v151, a35
	v_add_f64 v[28:29], v[28:29], v[252:253]
	v_accvgpr_read_b32 v150, a34
	v_accvgpr_read_b32 v163, a37
	v_add_f64 v[28:29], v[28:29], v[150:151]
	v_accvgpr_read_b32 v162, a36
	;; [unrolled: 3-line block ×4, first 2 shown]
	v_add_f64 v[28:29], v[28:29], v[166:167]
	s_mov_b32 s0, 0x370991
	s_mov_b32 s12, 0x75d4884
	;; [unrolled: 1-line block ×8, first 2 shown]
	v_add_f64 v[104:105], v[28:29], v[210:211]
	v_add_f64 v[28:29], v[34:35], v[210:211]
	s_mov_b32 s1, 0x3fedd6d0
	s_mov_b32 s10, 0x5d8e7cdc
	;; [unrolled: 1-line block ×16, first 2 shown]
	v_add_f64 v[34:35], v[200:201], -v[208:209]
	v_mul_f64 v[36:37], v[28:29], s[0:1]
	s_mov_b32 s11, 0x3fd71e95
	s_mov_b32 s19, 0xbfd71e95
	s_mov_b32 s18, s10
	v_mul_f64 v[42:43], v[28:29], s[12:13]
	s_mov_b32 s15, 0x3fe58eea
	s_mov_b32 s25, 0xbfe58eea
	s_mov_b32 s24, s14
	;; [unrolled: 4-line block ×8, first 2 shown]
	v_fma_f64 v[38:39], s[10:11], v[34:35], v[36:37]
	v_fmac_f64_e32 v[36:37], s[18:19], v[34:35]
	v_fma_f64 v[44:45], s[14:15], v[34:35], v[42:43]
	v_fmac_f64_e32 v[42:43], s[24:25], v[34:35]
	;; [unrolled: 2-line block ×8, first 2 shown]
	v_add_f64 v[38:39], v[0:1], v[38:39]
	v_add_f64 v[36:37], v[0:1], v[36:37]
	;; [unrolled: 1-line block ×17, first 2 shown]
	v_add_f64 v[34:35], v[112:113], -v[130:131]
	v_mul_f64 v[112:113], v[28:29], s[12:13]
	v_fma_f64 v[124:125], s[14:15], v[34:35], v[112:113]
	v_fmac_f64_e32 v[112:113], s[24:25], v[34:35]
	v_add_f64 v[36:37], v[112:113], v[36:37]
	v_mul_f64 v[112:113], v[28:29], s[26:27]
	v_add_f64 v[38:39], v[124:125], v[38:39]
	v_fma_f64 v[124:125], s[28:29], v[34:35], v[112:113]
	v_fmac_f64_e32 v[112:113], s[34:35], v[34:35]
	v_add_f64 v[42:43], v[112:113], v[42:43]
	v_mul_f64 v[112:113], v[28:29], s[42:43]
	v_add_f64 v[44:45], v[124:125], v[44:45]
	;; [unrolled: 5-line block ×6, first 2 shown]
	v_fma_f64 v[124:125], s[30:31], v[34:35], v[112:113]
	v_fmac_f64_e32 v[112:113], s[22:23], v[34:35]
	v_mul_f64 v[28:29], v[28:29], s[0:1]
	v_add_f64 v[112:113], v[112:113], v[114:115]
	v_fma_f64 v[114:115], s[18:19], v[34:35], v[28:29]
	v_fmac_f64_e32 v[28:29], s[10:11], v[34:35]
	v_add_f64 v[0:1], v[28:29], v[0:1]
	v_add_f64 v[28:29], v[138:139], v[164:165]
	v_add_f64 v[34:35], v[78:79], -v[122:123]
	v_mul_f64 v[78:79], v[28:29], s[20:21]
	v_add_f64 v[114:115], v[114:115], v[120:121]
	v_fma_f64 v[120:121], s[22:23], v[34:35], v[78:79]
	v_fmac_f64_e32 v[78:79], s[30:31], v[34:35]
	v_add_f64 v[36:37], v[78:79], v[36:37]
	v_mul_f64 v[78:79], v[28:29], s[42:43]
	v_add_f64 v[38:39], v[120:121], v[38:39]
	v_fma_f64 v[120:121], s[44:45], v[34:35], v[78:79]
	v_fmac_f64_e32 v[78:79], s[46:47], v[34:35]
	v_add_f64 v[42:43], v[78:79], v[42:43]
	;; [unrolled: 5-line block ×6, first 2 shown]
	v_mul_f64 v[108:109], v[28:29], s[26:27]
	v_add_f64 v[110:111], v[120:121], v[110:111]
	v_fma_f64 v[120:121], s[28:29], v[34:35], v[108:109]
	v_fmac_f64_e32 v[108:109], s[34:35], v[34:35]
	v_mul_f64 v[28:29], v[28:29], s[48:49]
	v_add_f64 v[108:109], v[108:109], v[112:113]
	v_fma_f64 v[112:113], s[50:51], v[34:35], v[28:29]
	v_fmac_f64_e32 v[28:29], s[52:53], v[34:35]
	v_add_f64 v[0:1], v[28:29], v[0:1]
	v_add_f64 v[28:29], v[148:149], v[162:163]
	v_add_f64 v[34:35], v[102:103], -v[118:119]
	v_mul_f64 v[102:103], v[28:29], s[26:27]
	v_add_f64 v[112:113], v[112:113], v[114:115]
	v_fma_f64 v[114:115], s[28:29], v[34:35], v[102:103]
	v_fmac_f64_e32 v[102:103], s[34:35], v[34:35]
	v_add_f64 v[36:37], v[102:103], v[36:37]
	v_mul_f64 v[102:103], v[28:29], s[54:55]
	v_add_f64 v[38:39], v[114:115], v[38:39]
	v_fma_f64 v[114:115], s[56:57], v[34:35], v[102:103]
	v_fmac_f64_e32 v[102:103], s[58:59], v[34:35]
	v_add_f64 v[42:43], v[102:103], v[42:43]
	;; [unrolled: 5-line block ×6, first 2 shown]
	v_mul_f64 v[102:103], v[28:29], s[42:43]
	v_add_f64 v[110:111], v[114:115], v[110:111]
	v_fma_f64 v[114:115], s[46:47], v[34:35], v[102:103]
	v_fmac_f64_e32 v[102:103], s[44:45], v[34:35]
	v_mul_f64 v[28:29], v[28:29], s[12:13]
	v_add_f64 v[102:103], v[102:103], v[108:109]
	v_fma_f64 v[108:109], s[24:25], v[34:35], v[28:29]
	v_fmac_f64_e32 v[28:29], s[14:15], v[34:35]
	v_add_f64 v[0:1], v[28:29], v[0:1]
	v_add_f64 v[28:29], v[146:147], v[150:151]
	v_add_f64 v[34:35], v[84:85], -v[82:83]
	v_mul_f64 v[82:83], v[28:29], s[36:37]
	v_fma_f64 v[84:85], s[38:39], v[34:35], v[82:83]
	v_fmac_f64_e32 v[82:83], s[40:41], v[34:35]
	v_add_f64 v[36:37], v[82:83], v[36:37]
	v_mul_f64 v[82:83], v[28:29], s[48:49]
	v_add_f64 v[38:39], v[84:85], v[38:39]
	v_fma_f64 v[84:85], s[52:53], v[34:35], v[82:83]
	v_fmac_f64_e32 v[82:83], s[50:51], v[34:35]
	v_add_f64 v[42:43], v[82:83], v[42:43]
	v_mul_f64 v[82:83], v[28:29], s[12:13]
	v_add_f64 v[44:45], v[84:85], v[44:45]
	v_fma_f64 v[84:85], s[24:25], v[34:35], v[82:83]
	v_fmac_f64_e32 v[82:83], s[14:15], v[34:35]
	v_add_f64 v[52:53], v[82:83], v[52:53]
	v_mul_f64 v[82:83], v[28:29], s[20:21]
	v_add_f64 v[76:77], v[84:85], v[76:77]
	v_fma_f64 v[84:85], s[22:23], v[34:35], v[82:83]
	v_fmac_f64_e32 v[82:83], s[30:31], v[34:35]
	v_add_f64 v[78:79], v[82:83], v[78:79]
	v_mul_f64 v[82:83], v[28:29], s[54:55]
	v_add_f64 v[84:85], v[84:85], v[86:87]
	v_fma_f64 v[86:87], s[56:57], v[34:35], v[82:83]
	v_fmac_f64_e32 v[82:83], s[58:59], v[34:35]
	v_add_f64 v[80:81], v[82:83], v[80:81]
	v_mul_f64 v[82:83], v[28:29], s[26:27]
	v_add_f64 v[86:87], v[86:87], v[106:107]
	v_fma_f64 v[106:107], s[34:35], v[34:35], v[82:83]
	v_fmac_f64_e32 v[82:83], s[28:29], v[34:35]
	v_add_f64 v[82:83], v[82:83], v[100:101]
	v_mul_f64 v[100:101], v[28:29], s[0:1]
	v_add_f64 v[106:107], v[106:107], v[110:111]
	v_fma_f64 v[110:111], s[10:11], v[34:35], v[100:101]
	v_fmac_f64_e32 v[100:101], s[18:19], v[34:35]
	v_mul_f64 v[28:29], v[28:29], s[42:43]
	v_add_f64 v[100:101], v[100:101], v[102:103]
	v_fma_f64 v[102:103], s[44:45], v[34:35], v[28:29]
	v_fmac_f64_e32 v[28:29], s[46:47], v[34:35]
	v_add_f64 v[0:1], v[28:29], v[0:1]
	v_add_f64 v[28:29], v[132:133], v[252:253]
	v_add_f64 v[34:35], v[50:51], -v[74:75]
	v_mul_f64 v[50:51], v[28:29], s[42:43]
	v_fma_f64 v[74:75], s[44:45], v[34:35], v[50:51]
	v_fmac_f64_e32 v[50:51], s[46:47], v[34:35]
	v_add_f64 v[36:37], v[50:51], v[36:37]
	v_mul_f64 v[50:51], v[28:29], s[36:37]
	v_add_f64 v[38:39], v[74:75], v[38:39]
	v_fma_f64 v[74:75], s[40:41], v[34:35], v[50:51]
	v_fmac_f64_e32 v[50:51], s[38:39], v[34:35]
	v_add_f64 v[42:43], v[50:51], v[42:43]
	v_mul_f64 v[50:51], v[28:29], s[0:1]
	v_add_f64 v[44:45], v[74:75], v[44:45]
	v_fma_f64 v[74:75], s[10:11], v[34:35], v[50:51]
	v_fmac_f64_e32 v[50:51], s[18:19], v[34:35]
	v_add_f64 v[50:51], v[50:51], v[52:53]
	v_mul_f64 v[52:53], v[28:29], s[48:49]
	v_add_f64 v[74:75], v[74:75], v[76:77]
	v_fma_f64 v[76:77], s[50:51], v[34:35], v[52:53]
	v_fmac_f64_e32 v[52:53], s[52:53], v[34:35]
	v_add_f64 v[52:53], v[52:53], v[78:79]
	v_mul_f64 v[78:79], v[28:29], s[26:27]
	v_add_f64 v[76:77], v[76:77], v[84:85]
	v_fma_f64 v[84:85], s[34:35], v[34:35], v[78:79]
	v_fmac_f64_e32 v[78:79], s[28:29], v[34:35]
	v_add_f64 v[78:79], v[78:79], v[80:81]
	v_mul_f64 v[80:81], v[28:29], s[12:13]
	v_add_f64 v[84:85], v[84:85], v[86:87]
	v_fma_f64 v[86:87], s[14:15], v[34:35], v[80:81]
	v_fmac_f64_e32 v[80:81], s[24:25], v[34:35]
	v_add_f64 v[80:81], v[80:81], v[82:83]
	;; [unrolled: 40-line block ×4, first 2 shown]
	v_add_f64 v[70:71], v[70:71], v[78:79]
	v_mul_f64 v[78:79], v[28:29], s[36:37]
	v_add_f64 v[116:117], v[120:121], v[116:117]
	v_add_f64 v[76:77], v[76:77], v[84:85]
	v_fma_f64 v[84:85], s[38:39], v[26:27], v[78:79]
	v_fmac_f64_e32 v[78:79], s[40:41], v[26:27]
	v_mul_f64 v[28:29], v[28:29], s[26:27]
	v_add_f64 v[114:115], v[114:115], v[116:117]
	v_add_f64 v[78:79], v[78:79], v[80:81]
	v_fma_f64 v[80:81], s[34:35], v[26:27], v[28:29]
	v_fmac_f64_e32 v[28:29], s[28:29], v[26:27]
	v_mov_b32_e32 v26, 3
	v_add_f64 v[108:109], v[108:109], v[112:113]
	v_add_f64 v[110:111], v[110:111], v[114:115]
	v_lshlrev_b32_sdwa v26, v26, v206 dst_sel:DWORD dst_unused:UNUSED_PAD src0_sel:DWORD src1_sel:BYTE_0
	v_add_f64 v[102:103], v[102:103], v[108:109]
	v_add_f64 v[106:107], v[106:107], v[110:111]
	v_add3_u32 v26, 0, v26, v160
	v_add_f64 v[100:101], v[100:101], v[102:103]
	v_add_f64 v[86:87], v[86:87], v[106:107]
	v_add_u32_e32 v27, 0x800, v26
	v_add_f64 v[82:83], v[82:83], v[100:101]
	v_add_f64 v[84:85], v[84:85], v[86:87]
	ds_write2_b64 v27, v[104:105], v[38:39] offset0:220 offset1:227
	ds_write2_b64 v27, v[40:41], v[44:45] offset0:234 offset1:241
	ds_write2_b64 v27, v[72:73], v[74:75] offset0:248 offset1:255
	v_add_u32_e32 v27, 0x1000, v26
	v_add_f64 v[80:81], v[80:81], v[82:83]
	v_add_f64 v[0:1], v[28:29], v[0:1]
	ds_write2_b64 v27, v[76:77], v[84:85] offset0:6 offset1:13
	ds_write2_b64 v27, v[80:81], v[0:1] offset0:20 offset1:27
	;; [unrolled: 1-line block ×5, first 2 shown]
	ds_write_b64 v26, v[34:35] offset:4704
.LBB0_20:
	s_or_b64 exec, exec, s[4:5]
	s_waitcnt lgkmcnt(0)
	; wave barrier
	s_waitcnt lgkmcnt(0)
	s_and_saveexec_b64 s[0:1], vcc
	s_cbranch_execz .LBB0_22
; %bb.21:
	v_lshlrev_b32_e32 v158, 2, v248
	v_add_u32_e32 v160, 0x198, v158
	v_mov_b32_e32 v161, 0
	v_lshl_add_u64 v[0:1], v[160:161], 4, s[8:9]
	global_load_dwordx4 v[26:29], v[0:1], off offset:1808
	global_load_dwordx4 v[34:37], v[0:1], off offset:1792
	;; [unrolled: 1-line block ×4, first 2 shown]
	v_mul_lo_u32 v50, s3, v234
	v_mul_lo_u32 v51, s2, v235
	v_mad_u64_u32 v[0:1], s[0:1], s2, v234, 0
	v_add_u32_e32 v160, 0x154, v158
	v_add_u32_e32 v162, 0x800, v254
	v_add3_u32 v1, v1, v51, v50
	v_lshl_add_u64 v[50:51], v[160:161], 4, s[8:9]
	ds_read2_b64 v[80:83], v254 offset0:221 offset1:238
	v_add_u32_e32 v116, 0x1000, v254
	ds_read2_b64 v[70:73], v254 offset0:85 offset1:102
	ds_read2_b64 v[74:77], v162 offset0:67 offset1:84
	global_load_dwordx4 v[108:111], v[50:51], off offset:1808
	ds_read2_b64 v[84:87], v162 offset0:203 offset1:220
	ds_read2_b64 v[100:103], v116 offset0:49 offset1:66
	global_load_dwordx4 v[104:107], v[50:51], off offset:1840
	global_load_dwordx4 v[112:115], v[50:51], off offset:1824
	;; [unrolled: 1-line block ×3, first 2 shown]
	s_mov_b32 s0, 0x134454ff
	s_mov_b32 s1, 0x3fee6f0e
	;; [unrolled: 1-line block ×10, first 2 shown]
	v_lshlrev_b32_e32 v160, 2, v128
	ds_read2_b64 v[164:167], v162 offset0:169 offset1:186
	v_lshl_add_u64 v[0:1], v[0:1], 4, s[6:7]
	v_lshl_add_u64 v[0:1], v[232:233], 4, v[0:1]
	s_waitcnt vmcnt(7)
	v_mul_f64 v[50:51], v[64:65], v[28:29]
	s_waitcnt vmcnt(6)
	v_mul_f64 v[52:53], v[10:11], v[36:37]
	;; [unrolled: 2-line block ×4, first 2 shown]
	s_waitcnt lgkmcnt(3)
	v_mul_f64 v[120:121], v[76:77], v[28:29]
	s_waitcnt lgkmcnt(2)
	v_mul_f64 v[122:123], v[84:85], v[40:41]
	v_mul_f64 v[124:125], v[80:81], v[36:37]
	s_waitcnt lgkmcnt(1)
	v_mul_f64 v[126:127], v[102:103], v[44:45]
	v_fma_f64 v[28:29], v[76:77], v[26:27], -v[50:51]
	v_fma_f64 v[36:37], v[80:81], v[34:35], -v[52:53]
	;; [unrolled: 1-line block ×4, first 2 shown]
	v_fmac_f64_e32 v[120:121], v[64:65], v[26:27]
	v_fmac_f64_e32 v[122:123], v[6:7], v[38:39]
	;; [unrolled: 1-line block ×4, first 2 shown]
	v_add_f64 v[6:7], v[28:29], -v[36:37]
	v_add_f64 v[10:11], v[50:51], -v[52:53]
	v_add_f64 v[34:35], v[36:37], v[52:53]
	v_add_f64 v[38:39], v[36:37], -v[28:29]
	v_add_f64 v[44:45], v[52:53], -v[50:51]
	v_add_f64 v[60:61], v[28:29], v[50:51]
	v_add_f64 v[26:27], v[120:121], -v[122:123]
	v_add_f64 v[42:43], v[124:125], -v[126:127]
	v_add_f64 v[64:65], v[36:37], v[72:73]
	v_add_f64 v[80:81], v[36:37], -v[52:53]
	v_add_f64 v[36:37], v[124:125], v[126:127]
	v_add_f64 v[6:7], v[6:7], v[10:11]
	v_fma_f64 v[40:41], -0.5, v[34:35], v[72:73]
	v_add_f64 v[10:11], v[38:39], v[44:45]
	v_fma_f64 v[44:45], -0.5, v[60:61], v[72:73]
	v_add_f64 v[84:85], v[28:29], -v[50:51]
	v_add_f64 v[34:35], v[28:29], v[64:65]
	v_fma_f64 v[38:39], -0.5, v[36:37], v[98:99]
	v_fma_f64 v[36:37], s[0:1], v[26:27], v[40:41]
	v_fmac_f64_e32 v[40:41], s[10:11], v[26:27]
	v_fma_f64 v[28:29], s[10:11], v[42:43], v[44:45]
	v_fmac_f64_e32 v[44:45], s[0:1], v[42:43]
	v_fmac_f64_e32 v[36:37], s[2:3], v[42:43]
	;; [unrolled: 1-line block ×9, first 2 shown]
	v_add_f64 v[6:7], v[124:125], -v[120:121]
	v_add_f64 v[10:11], v[126:127], -v[122:123]
	v_add_f64 v[6:7], v[6:7], v[10:11]
	v_add_f64 v[10:11], v[120:121], v[122:123]
	v_fma_f64 v[42:43], -0.5, v[10:11], v[98:99]
	v_fma_f64 v[26:27], s[0:1], v[80:81], v[42:43]
	v_fmac_f64_e32 v[42:43], s[10:11], v[80:81]
	v_fmac_f64_e32 v[26:27], s[12:13], v[84:85]
	;; [unrolled: 1-line block ×5, first 2 shown]
	v_add_f64 v[6:7], v[98:99], v[124:125]
	v_lshl_add_u64 v[10:11], v[160:161], 4, s[8:9]
	v_add_f64 v[6:7], v[120:121], v[6:7]
	global_load_dwordx4 v[146:149], v[10:11], off offset:1808
	v_add_f64 v[50:51], v[50:51], v[34:35]
	v_add_f64 v[6:7], v[6:7], v[122:123]
	v_add_f64 v[76:77], v[120:121], -v[124:125]
	v_add_f64 v[78:79], v[122:123], -v[126:127]
	v_add_f64 v[52:53], v[52:53], v[50:51]
	v_add_f64 v[50:51], v[6:7], v[126:127]
	global_load_dwordx4 v[124:127], v[10:11], off offset:1792
	ds_read2_b64 v[120:123], v254 offset0:187 offset1:204
	global_load_dwordx4 v[128:131], v[10:11], off offset:1840
	global_load_dwordx4 v[168:171], v[10:11], off offset:1824
	v_fma_f64 v[34:35], s[10:11], v[84:85], v[38:39]
	v_fmac_f64_e32 v[38:39], s[0:1], v[84:85]
	v_add_f64 v[60:61], v[76:77], v[78:79]
	v_fmac_f64_e32 v[34:35], s[12:13], v[80:81]
	v_fmac_f64_e32 v[38:39], s[2:3], v[80:81]
	s_waitcnt vmcnt(5)
	v_mul_f64 v[64:65], v[94:95], v[114:115]
	v_fmac_f64_e32 v[34:35], s[4:5], v[60:61]
	v_fmac_f64_e32 v[38:39], s[4:5], v[60:61]
	v_mul_f64 v[6:7], v[62:63], v[110:111]
	s_waitcnt vmcnt(4)
	v_mul_f64 v[60:61], v[90:91], v[134:135]
	s_waitcnt lgkmcnt(1)
	v_fma_f64 v[78:79], v[166:167], v[112:113], -v[64:65]
	v_mul_f64 v[64:65], v[58:59], v[106:107]
	v_fma_f64 v[6:7], v[74:75], v[108:109], -v[6:7]
	s_waitcnt lgkmcnt(0)
	v_fma_f64 v[10:11], v[122:123], v[132:133], -v[60:61]
	v_fma_f64 v[84:85], v[100:101], v[104:105], -v[64:65]
	v_mul_f64 v[102:103], v[166:167], v[114:115]
	v_add_f64 v[60:61], v[6:7], -v[10:11]
	v_add_f64 v[64:65], v[78:79], -v[84:85]
	v_mul_f64 v[98:99], v[74:75], v[110:111]
	v_fmac_f64_e32 v[102:103], v[94:95], v[112:113]
	v_mul_f64 v[94:95], v[122:123], v[134:135]
	v_add_f64 v[64:65], v[60:61], v[64:65]
	v_fmac_f64_e32 v[98:99], v[62:63], v[108:109]
	v_add_f64 v[60:61], v[10:11], v[84:85]
	v_fmac_f64_e32 v[94:95], v[90:91], v[132:133]
	v_mul_f64 v[90:91], v[100:101], v[106:107]
	v_add_f64 v[62:63], v[98:99], -v[102:103]
	v_fma_f64 v[72:73], -0.5, v[60:61], v[70:71]
	v_fmac_f64_e32 v[90:91], v[58:59], v[104:105]
	v_fma_f64 v[60:61], s[0:1], v[62:63], v[72:73]
	v_add_f64 v[58:59], v[94:95], -v[90:91]
	v_fmac_f64_e32 v[72:73], s[10:11], v[62:63]
	v_fmac_f64_e32 v[60:61], s[2:3], v[58:59]
	;; [unrolled: 1-line block ×5, first 2 shown]
	v_add_f64 v[64:65], v[10:11], -v[6:7]
	v_add_f64 v[74:75], v[84:85], -v[78:79]
	v_add_f64 v[74:75], v[64:65], v[74:75]
	v_add_f64 v[64:65], v[6:7], v[78:79]
	v_fma_f64 v[76:77], -0.5, v[64:65], v[70:71]
	v_fma_f64 v[64:65], s[10:11], v[58:59], v[76:77]
	v_fmac_f64_e32 v[76:77], s[0:1], v[58:59]
	v_add_f64 v[58:59], v[10:11], v[70:71]
	v_add_f64 v[58:59], v[6:7], v[58:59]
	;; [unrolled: 1-line block ×3, first 2 shown]
	v_fmac_f64_e32 v[64:65], s[2:3], v[62:63]
	v_fmac_f64_e32 v[76:77], s[12:13], v[62:63]
	v_add_f64 v[80:81], v[84:85], v[58:59]
	v_add_f64 v[58:59], v[98:99], -v[94:95]
	v_add_f64 v[62:63], v[102:103], -v[90:91]
	v_add_f64 v[62:63], v[58:59], v[62:63]
	v_add_f64 v[58:59], v[94:95], v[90:91]
	v_fma_f64 v[70:71], -0.5, v[58:59], v[96:97]
	v_add_f64 v[6:7], v[6:7], -v[78:79]
	v_add_f64 v[10:11], v[10:11], -v[84:85]
	v_fma_f64 v[58:59], s[10:11], v[6:7], v[70:71]
	v_fmac_f64_e32 v[70:71], s[0:1], v[6:7]
	v_fmac_f64_e32 v[58:59], s[12:13], v[10:11]
	;; [unrolled: 1-line block ×7, first 2 shown]
	v_add_f64 v[62:63], v[94:95], -v[98:99]
	v_add_f64 v[74:75], v[90:91], -v[102:103]
	v_add_f64 v[78:79], v[62:63], v[74:75]
	v_add_f64 v[62:63], v[98:99], v[102:103]
	v_fma_f64 v[74:75], -0.5, v[62:63], v[96:97]
	v_lshlrev_b32_e32 v160, 2, v136
	v_fma_f64 v[62:63], s[0:1], v[10:11], v[74:75]
	v_fmac_f64_e32 v[74:75], s[10:11], v[10:11]
	v_lshl_add_u64 v[10:11], v[160:161], 4, s[8:9]
	global_load_dwordx4 v[136:139], v[10:11], off offset:1808
	global_load_dwordx4 v[112:115], v[10:11], off offset:1792
	ds_read2_b64 v[108:111], v162 offset0:33 offset1:50
	ds_read2_b64 v[116:119], v116 offset0:15 offset1:32
	global_load_dwordx4 v[132:135], v[10:11], off offset:1840
	global_load_dwordx4 v[172:175], v[10:11], off offset:1824
	v_fmac_f64_e32 v[62:63], s[12:13], v[6:7]
	v_fmac_f64_e32 v[74:75], s[2:3], v[6:7]
	v_add_f64 v[6:7], v[96:97], v[94:95]
	v_add_f64 v[6:7], v[98:99], v[6:7]
	;; [unrolled: 1-line block ×3, first 2 shown]
	s_waitcnt vmcnt(7) lgkmcnt(1)
	v_mul_f64 v[104:105], v[110:111], v[148:149]
	v_fmac_f64_e32 v[62:63], s[4:5], v[78:79]
	v_fmac_f64_e32 v[74:75], s[4:5], v[78:79]
	v_add_f64 v[78:79], v[6:7], v[90:91]
	v_mul_f64 v[6:7], v[68:69], v[148:149]
	v_fmac_f64_e32 v[104:105], v[68:69], v[146:147]
	ds_read_b64 v[68:69], v159
	s_waitcnt vmcnt(6)
	v_mul_f64 v[84:85], v[88:89], v[126:127]
	s_waitcnt vmcnt(4)
	v_mul_f64 v[94:95], v[92:93], v[170:171]
	v_mul_f64 v[10:11], v[56:57], v[130:131]
	v_fma_f64 v[6:7], v[110:111], v[146:147], -v[6:7]
	v_fma_f64 v[84:85], v[120:121], v[124:125], -v[84:85]
	;; [unrolled: 1-line block ×3, first 2 shown]
	s_waitcnt lgkmcnt(1)
	v_fma_f64 v[10:11], v[118:119], v[128:129], -v[10:11]
	v_add_f64 v[90:91], v[6:7], -v[84:85]
	v_add_f64 v[94:95], v[100:101], -v[10:11]
	v_mul_f64 v[110:111], v[164:165], v[170:171]
	v_add_f64 v[94:95], v[90:91], v[94:95]
	v_fmac_f64_e32 v[110:111], v[92:93], v[168:169]
	v_add_f64 v[90:91], v[84:85], v[10:11]
	v_mul_f64 v[120:121], v[120:121], v[126:127]
	v_mul_f64 v[118:119], v[118:119], v[130:131]
	v_add_f64 v[92:93], v[104:105], -v[110:111]
	s_waitcnt lgkmcnt(0)
	v_fma_f64 v[98:99], -0.5, v[90:91], v[68:69]
	v_fmac_f64_e32 v[120:121], v[88:89], v[124:125]
	v_fmac_f64_e32 v[118:119], v[56:57], v[128:129]
	v_fma_f64 v[90:91], s[0:1], v[92:93], v[98:99]
	v_add_f64 v[56:57], v[120:121], -v[118:119]
	v_fmac_f64_e32 v[98:99], s[10:11], v[92:93]
	v_fmac_f64_e32 v[90:91], s[2:3], v[56:57]
	v_fmac_f64_e32 v[98:99], s[12:13], v[56:57]
	v_fmac_f64_e32 v[90:91], s[4:5], v[94:95]
	v_fmac_f64_e32 v[98:99], s[4:5], v[94:95]
	v_add_f64 v[88:89], v[84:85], -v[6:7]
	v_add_f64 v[94:95], v[10:11], -v[100:101]
	v_add_f64 v[88:89], v[88:89], v[94:95]
	v_add_f64 v[94:95], v[6:7], v[100:101]
	v_fma_f64 v[102:103], -0.5, v[94:95], v[68:69]
	v_fma_f64 v[94:95], s[10:11], v[56:57], v[102:103]
	v_fmac_f64_e32 v[102:103], s[0:1], v[56:57]
	v_add_f64 v[56:57], v[84:85], v[68:69]
	v_add_f64 v[56:57], v[6:7], v[56:57]
	;; [unrolled: 1-line block ×4, first 2 shown]
	v_add_f64 v[56:57], v[104:105], -v[120:121]
	v_add_f64 v[68:69], v[110:111], -v[118:119]
	v_add_f64 v[56:57], v[56:57], v[68:69]
	v_add_f64 v[68:69], v[120:121], v[118:119]
	v_fmac_f64_e32 v[94:95], s[2:3], v[92:93]
	v_fmac_f64_e32 v[102:103], s[12:13], v[92:93]
	v_fma_f64 v[96:97], -0.5, v[68:69], v[142:143]
	v_add_f64 v[6:7], v[6:7], -v[100:101]
	v_fmac_f64_e32 v[94:95], s[4:5], v[88:89]
	v_fmac_f64_e32 v[102:103], s[4:5], v[88:89]
	v_add_f64 v[10:11], v[84:85], -v[10:11]
	v_fma_f64 v[88:89], s[10:11], v[6:7], v[96:97]
	v_fmac_f64_e32 v[96:97], s[0:1], v[6:7]
	v_fmac_f64_e32 v[88:89], s[12:13], v[10:11]
	v_fmac_f64_e32 v[96:97], s[2:3], v[10:11]
	v_fmac_f64_e32 v[88:89], s[4:5], v[56:57]
	v_fmac_f64_e32 v[96:97], s[4:5], v[56:57]
	v_add_f64 v[56:57], v[120:121], -v[104:105]
	v_add_f64 v[68:69], v[118:119], -v[110:111]
	v_add_f64 v[56:57], v[56:57], v[68:69]
	v_add_f64 v[68:69], v[104:105], v[110:111]
	v_fma_f64 v[100:101], -0.5, v[68:69], v[142:143]
	v_lshlrev_b32_e32 v160, 2, v255
	v_fma_f64 v[92:93], s[0:1], v[10:11], v[100:101]
	v_fmac_f64_e32 v[100:101], s[10:11], v[10:11]
	v_lshl_add_u64 v[10:11], v[160:161], 4, s[8:9]
	v_fmac_f64_e32 v[92:93], s[12:13], v[6:7]
	v_fmac_f64_e32 v[100:101], s[2:3], v[6:7]
	v_add_f64 v[6:7], v[142:143], v[120:121]
	ds_read2_b64 v[120:123], v254 offset0:153 offset1:170
	global_load_dwordx4 v[148:151], v[10:11], off offset:1808
	global_load_dwordx4 v[124:127], v[10:11], off offset:1792
	ds_read2_b64 v[164:167], v162 offset0:135 offset1:152
	global_load_dwordx4 v[128:131], v[10:11], off offset:1840
	global_load_dwordx4 v[168:171], v[10:11], off offset:1824
	v_add_f64 v[6:7], v[104:105], v[6:7]
	v_add_f64 v[6:7], v[6:7], v[110:111]
	;; [unrolled: 1-line block ×3, first 2 shown]
	s_waitcnt vmcnt(7)
	v_mul_f64 v[6:7], v[66:67], v[138:139]
	v_mul_f64 v[138:139], v[108:109], v[138:139]
	v_fmac_f64_e32 v[138:139], v[66:67], v[136:137]
	ds_read_b64 v[66:67], v145
	v_fmac_f64_e32 v[92:93], s[4:5], v[56:57]
	v_fmac_f64_e32 v[100:101], s[4:5], v[56:57]
	v_fma_f64 v[84:85], v[108:109], v[136:137], -v[6:7]
	s_waitcnt vmcnt(6)
	v_mul_f64 v[6:7], v[32:33], v[114:115]
	s_waitcnt vmcnt(4)
	v_mul_f64 v[10:11], v[48:49], v[174:175]
	v_mul_f64 v[56:57], v[54:55], v[134:135]
	s_waitcnt lgkmcnt(2)
	v_fma_f64 v[142:143], v[122:123], v[112:113], -v[6:7]
	s_waitcnt lgkmcnt(1)
	v_fma_f64 v[10:11], v[166:167], v[172:173], -v[10:11]
	v_fma_f64 v[146:147], v[116:117], v[132:133], -v[56:57]
	v_add_f64 v[6:7], v[84:85], -v[142:143]
	v_add_f64 v[56:57], v[10:11], -v[146:147]
	v_mul_f64 v[136:137], v[166:167], v[174:175]
	v_mul_f64 v[122:123], v[122:123], v[114:115]
	v_add_f64 v[68:69], v[6:7], v[56:57]
	ds_read_b64 v[6:7], v144
	v_fmac_f64_e32 v[136:137], v[48:49], v[172:173]
	v_add_f64 v[56:57], v[142:143], v[146:147]
	v_fmac_f64_e32 v[122:123], v[32:33], v[112:113]
	v_mul_f64 v[32:33], v[116:117], v[134:135]
	v_add_f64 v[48:49], v[138:139], -v[136:137]
	s_waitcnt lgkmcnt(1)
	v_fma_f64 v[110:111], -0.5, v[56:57], v[66:67]
	v_fmac_f64_e32 v[32:33], v[54:55], v[132:133]
	v_fma_f64 v[56:57], s[0:1], v[48:49], v[110:111]
	v_add_f64 v[54:55], v[122:123], -v[32:33]
	v_fmac_f64_e32 v[110:111], s[10:11], v[48:49]
	v_fmac_f64_e32 v[56:57], s[2:3], v[54:55]
	;; [unrolled: 1-line block ×5, first 2 shown]
	v_add_f64 v[68:69], v[142:143], -v[84:85]
	v_add_f64 v[108:109], v[146:147], -v[10:11]
	v_add_f64 v[108:109], v[68:69], v[108:109]
	v_add_f64 v[68:69], v[84:85], v[10:11]
	v_fma_f64 v[114:115], -0.5, v[68:69], v[66:67]
	v_fma_f64 v[68:69], s[10:11], v[54:55], v[114:115]
	v_fmac_f64_e32 v[114:115], s[0:1], v[54:55]
	v_fmac_f64_e32 v[68:69], s[2:3], v[48:49]
	;; [unrolled: 1-line block ×3, first 2 shown]
	v_add_f64 v[48:49], v[142:143], v[66:67]
	v_add_f64 v[48:49], v[84:85], v[48:49]
	;; [unrolled: 1-line block ×4, first 2 shown]
	v_add_f64 v[48:49], v[138:139], -v[122:123]
	v_add_f64 v[54:55], v[136:137], -v[32:33]
	v_add_f64 v[48:49], v[48:49], v[54:55]
	v_add_f64 v[54:55], v[122:123], v[32:33]
	v_fmac_f64_e32 v[68:69], s[4:5], v[108:109]
	v_fmac_f64_e32 v[114:115], s[4:5], v[108:109]
	v_fma_f64 v[108:109], -0.5, v[54:55], v[140:141]
	v_add_f64 v[10:11], v[84:85], -v[10:11]
	v_add_f64 v[116:117], v[142:143], -v[146:147]
	v_fma_f64 v[54:55], s[10:11], v[10:11], v[108:109]
	v_fmac_f64_e32 v[108:109], s[0:1], v[10:11]
	v_fmac_f64_e32 v[54:55], s[12:13], v[116:117]
	;; [unrolled: 1-line block ×5, first 2 shown]
	v_add_f64 v[48:49], v[122:123], -v[138:139]
	v_add_f64 v[66:67], v[32:33], -v[136:137]
	v_add_f64 v[48:49], v[48:49], v[66:67]
	v_add_f64 v[66:67], v[138:139], v[136:137]
	v_fma_f64 v[112:113], -0.5, v[66:67], v[140:141]
	v_fma_f64 v[66:67], s[0:1], v[116:117], v[112:113]
	v_fmac_f64_e32 v[112:113], s[10:11], v[116:117]
	v_fmac_f64_e32 v[66:67], s[12:13], v[10:11]
	;; [unrolled: 1-line block ×3, first 2 shown]
	v_add_f64 v[10:11], v[140:141], v[122:123]
	v_fmac_f64_e32 v[66:67], s[4:5], v[48:49]
	v_fmac_f64_e32 v[112:113], s[4:5], v[48:49]
	v_add_u32_e32 v48, 0x400, v254
	v_add_f64 v[10:11], v[138:139], v[10:11]
	v_lshlrev_b32_e32 v160, 2, v249
	ds_read2_b64 v[132:135], v48 offset0:127 offset1:144
	v_add_f64 v[10:11], v[10:11], v[136:137]
	v_lshl_add_u64 v[48:49], v[160:161], 4, s[8:9]
	ds_read2_b64 v[136:139], v162 offset0:237 offset1:254
	global_load_dwordx4 v[172:175], v[48:49], off offset:1808
	global_load_dwordx4 v[144:147], v[48:49], off offset:1792
	;; [unrolled: 1-line block ×4, first 2 shown]
	v_add_f64 v[116:117], v[10:11], v[32:33]
	s_waitcnt vmcnt(7)
	v_mul_f64 v[10:11], v[24:25], v[150:151]
	s_waitcnt vmcnt(6)
	v_mul_f64 v[32:33], v[30:31], v[126:127]
	;; [unrolled: 2-line block ×3, first 2 shown]
	v_mul_f64 v[48:49], v[20:21], v[130:131]
	s_waitcnt lgkmcnt(1)
	v_fma_f64 v[10:11], v[134:135], v[148:149], -v[10:11]
	v_fma_f64 v[84:85], v[120:121], v[124:125], -v[32:33]
	;; [unrolled: 1-line block ×3, first 2 shown]
	s_waitcnt lgkmcnt(0)
	v_fma_f64 v[180:181], v[138:139], v[128:129], -v[48:49]
	v_mul_f64 v[134:135], v[134:135], v[150:151]
	v_add_f64 v[32:33], v[10:11], -v[84:85]
	v_add_f64 v[48:49], v[166:167], -v[180:181]
	v_fmac_f64_e32 v[134:135], v[24:25], v[148:149]
	v_mul_f64 v[24:25], v[164:165], v[170:171]
	v_add_f64 v[48:49], v[32:33], v[48:49]
	v_fmac_f64_e32 v[24:25], v[46:47], v[168:169]
	v_add_f64 v[32:33], v[84:85], v[180:181]
	v_accvgpr_read_b32 v122, a3
	v_mul_f64 v[148:149], v[120:121], v[126:127]
	v_mul_f64 v[138:139], v[138:139], v[130:131]
	v_add_f64 v[46:47], v[134:135], -v[24:25]
	ds_read_b64 v[184:185], v122
	v_fma_f64 v[122:123], -0.5, v[32:33], v[6:7]
	v_fmac_f64_e32 v[148:149], v[30:31], v[124:125]
	v_fmac_f64_e32 v[138:139], v[20:21], v[128:129]
	v_fma_f64 v[32:33], s[0:1], v[46:47], v[122:123]
	v_add_f64 v[20:21], v[148:149], -v[138:139]
	v_fmac_f64_e32 v[122:123], s[10:11], v[46:47]
	v_fmac_f64_e32 v[32:33], s[2:3], v[20:21]
	;; [unrolled: 1-line block ×5, first 2 shown]
	v_add_f64 v[30:31], v[84:85], -v[10:11]
	v_add_f64 v[48:49], v[180:181], -v[166:167]
	v_add_f64 v[30:31], v[30:31], v[48:49]
	v_add_f64 v[48:49], v[10:11], v[166:167]
	v_fma_f64 v[126:127], -0.5, v[48:49], v[6:7]
	v_fma_f64 v[48:49], s[10:11], v[20:21], v[126:127]
	v_fmac_f64_e32 v[126:127], s[0:1], v[20:21]
	v_add_f64 v[6:7], v[84:85], v[6:7]
	v_fmac_f64_e32 v[48:49], s[2:3], v[46:47]
	v_fmac_f64_e32 v[126:127], s[12:13], v[46:47]
	v_add_f64 v[6:7], v[10:11], v[6:7]
	v_fmac_f64_e32 v[48:49], s[4:5], v[30:31]
	v_fmac_f64_e32 v[126:127], s[4:5], v[30:31]
	v_add_f64 v[6:7], v[166:167], v[6:7]
	v_add_f64 v[30:31], v[148:149], v[138:139]
	;; [unrolled: 1-line block ×3, first 2 shown]
	v_add_f64 v[6:7], v[134:135], -v[148:149]
	v_add_f64 v[20:21], v[24:25], -v[138:139]
	v_fma_f64 v[120:121], -0.5, v[30:31], v[156:157]
	v_add_f64 v[10:11], v[10:11], -v[166:167]
	v_add_f64 v[6:7], v[6:7], v[20:21]
	v_add_f64 v[20:21], v[84:85], -v[180:181]
	v_fma_f64 v[30:31], s[10:11], v[10:11], v[120:121]
	v_fmac_f64_e32 v[120:121], s[0:1], v[10:11]
	v_fmac_f64_e32 v[30:31], s[12:13], v[20:21]
	;; [unrolled: 1-line block ×5, first 2 shown]
	v_add_f64 v[6:7], v[148:149], -v[134:135]
	v_add_f64 v[46:47], v[138:139], -v[24:25]
	v_add_f64 v[6:7], v[6:7], v[46:47]
	v_add_f64 v[46:47], v[134:135], v[24:25]
	v_fma_f64 v[124:125], -0.5, v[46:47], v[156:157]
	v_fma_f64 v[46:47], s[0:1], v[20:21], v[124:125]
	v_fmac_f64_e32 v[124:125], s[10:11], v[20:21]
	v_mov_b32_e32 v159, v161
	v_fmac_f64_e32 v[46:47], s[12:13], v[10:11]
	v_fmac_f64_e32 v[124:125], s[2:3], v[10:11]
	v_lshl_add_u64 v[10:11], v[158:159], 4, s[8:9]
	v_fmac_f64_e32 v[46:47], s[4:5], v[6:7]
	v_fmac_f64_e32 v[124:125], s[4:5], v[6:7]
	v_add_f64 v[6:7], v[156:157], v[148:149]
	global_load_dwordx4 v[148:151], v[10:11], off offset:1808
	global_load_dwordx4 v[156:159], v[10:11], off offset:1792
	ds_read2_b64 v[164:167], v254 offset0:119 offset1:136
	global_load_dwordx4 v[168:171], v[10:11], off offset:1840
	global_load_dwordx4 v[180:183], v[10:11], off offset:1824
	ds_read2_b64 v[160:163], v162 offset0:101 offset1:118
	v_add_f64 v[6:7], v[134:135], v[6:7]
	v_add_f64 v[6:7], v[6:7], v[24:25]
	;; [unrolled: 1-line block ×3, first 2 shown]
	s_waitcnt vmcnt(7)
	v_mul_f64 v[6:7], v[22:23], v[174:175]
	v_fma_f64 v[10:11], v[132:133], v[172:173], -v[6:7]
	s_waitcnt vmcnt(6)
	v_mul_f64 v[6:7], v[4:5], v[146:147]
	s_waitcnt vmcnt(4)
	v_mul_f64 v[24:25], v[16:17], v[178:179]
	v_mul_f64 v[84:85], v[18:19], v[142:143]
	s_waitcnt lgkmcnt(1)
	v_fma_f64 v[20:21], v[166:167], v[144:145], -v[6:7]
	s_waitcnt lgkmcnt(0)
	v_fma_f64 v[24:25], v[162:163], v[176:177], -v[24:25]
	v_fma_f64 v[84:85], v[136:137], v[140:141], -v[84:85]
	v_add_f64 v[6:7], v[10:11], -v[20:21]
	v_add_f64 v[134:135], v[24:25], -v[84:85]
	v_mul_f64 v[174:175], v[132:133], v[174:175]
	v_mul_f64 v[162:163], v[162:163], v[178:179]
	v_add_f64 v[134:135], v[6:7], v[134:135]
	v_fmac_f64_e32 v[174:175], v[22:23], v[172:173]
	v_fmac_f64_e32 v[162:163], v[16:17], v[176:177]
	v_add_f64 v[6:7], v[20:21], v[84:85]
	v_accvgpr_read_b32 v22, a2
	v_mul_f64 v[146:147], v[166:167], v[146:147]
	v_mul_f64 v[136:137], v[136:137], v[142:143]
	v_add_f64 v[16:17], v[174:175], -v[162:163]
	ds_read_b64 v[172:173], v22
	v_fma_f64 v[22:23], -0.5, v[6:7], v[184:185]
	v_fmac_f64_e32 v[146:147], v[4:5], v[144:145]
	v_fmac_f64_e32 v[136:137], v[18:19], v[140:141]
	v_fma_f64 v[6:7], s[0:1], v[16:17], v[22:23]
	v_add_f64 v[4:5], v[146:147], -v[136:137]
	v_fmac_f64_e32 v[22:23], s[10:11], v[16:17]
	v_add_f64 v[18:19], v[20:21], -v[10:11]
	v_add_f64 v[132:133], v[84:85], -v[24:25]
	v_fmac_f64_e32 v[6:7], s[2:3], v[4:5]
	v_fmac_f64_e32 v[22:23], s[12:13], v[4:5]
	v_add_f64 v[132:133], v[18:19], v[132:133]
	v_add_f64 v[18:19], v[10:11], v[24:25]
	v_fmac_f64_e32 v[6:7], s[4:5], v[134:135]
	v_fmac_f64_e32 v[22:23], s[4:5], v[134:135]
	v_fma_f64 v[134:135], -0.5, v[18:19], v[184:185]
	v_fma_f64 v[18:19], s[10:11], v[4:5], v[134:135]
	v_fmac_f64_e32 v[134:135], s[0:1], v[4:5]
	v_add_f64 v[4:5], v[20:21], v[184:185]
	v_add_f64 v[4:5], v[10:11], v[4:5]
	;; [unrolled: 1-line block ×3, first 2 shown]
	v_fmac_f64_e32 v[18:19], s[2:3], v[16:17]
	v_fmac_f64_e32 v[134:135], s[12:13], v[16:17]
	v_add_f64 v[138:139], v[84:85], v[4:5]
	v_add_f64 v[4:5], v[174:175], -v[146:147]
	v_add_f64 v[16:17], v[162:163], -v[136:137]
	v_add_f64 v[16:17], v[4:5], v[16:17]
	v_add_f64 v[4:5], v[146:147], v[136:137]
	v_add_f64 v[84:85], v[20:21], -v[84:85]
	v_fma_f64 v[20:21], -0.5, v[4:5], v[154:155]
	v_add_f64 v[10:11], v[10:11], -v[24:25]
	v_fma_f64 v[4:5], s[10:11], v[10:11], v[20:21]
	v_fmac_f64_e32 v[20:21], s[0:1], v[10:11]
	v_fmac_f64_e32 v[4:5], s[12:13], v[84:85]
	;; [unrolled: 1-line block ×5, first 2 shown]
	v_add_f64 v[16:17], v[146:147], -v[174:175]
	v_add_f64 v[24:25], v[136:137], -v[162:163]
	v_add_f64 v[24:25], v[16:17], v[24:25]
	v_add_f64 v[16:17], v[174:175], v[162:163]
	v_fmac_f64_e32 v[18:19], s[4:5], v[132:133]
	v_fmac_f64_e32 v[134:135], s[4:5], v[132:133]
	v_fma_f64 v[132:133], -0.5, v[16:17], v[154:155]
	v_fma_f64 v[16:17], s[0:1], v[84:85], v[132:133]
	v_fmac_f64_e32 v[132:133], s[10:11], v[84:85]
	v_fmac_f64_e32 v[16:17], s[12:13], v[10:11]
	;; [unrolled: 1-line block ×3, first 2 shown]
	v_add_f64 v[10:11], v[154:155], v[146:147]
	v_add_f64 v[10:11], v[174:175], v[10:11]
	;; [unrolled: 1-line block ×4, first 2 shown]
	s_waitcnt vmcnt(3)
	v_mul_f64 v[10:11], v[12:13], v[150:151]
	v_fmac_f64_e32 v[16:17], s[4:5], v[24:25]
	v_fmac_f64_e32 v[132:133], s[4:5], v[24:25]
	s_waitcnt vmcnt(0)
	v_mul_f64 v[84:85], v[14:15], v[182:183]
	v_fma_f64 v[24:25], v[82:83], v[148:149], -v[10:11]
	v_mul_f64 v[10:11], v[2:3], v[158:159]
	v_fma_f64 v[144:145], v[160:161], v[180:181], -v[84:85]
	;; [unrolled: 2-line block ×3, first 2 shown]
	v_fma_f64 v[154:155], v[86:87], v[168:169], -v[84:85]
	v_mul_f64 v[150:151], v[82:83], v[150:151]
	v_add_f64 v[10:11], v[24:25], -v[140:141]
	v_add_f64 v[84:85], v[144:145], -v[154:155]
	v_fmac_f64_e32 v[150:151], v[12:13], v[148:149]
	v_mul_f64 v[148:149], v[160:161], v[182:183]
	v_mul_f64 v[158:159], v[164:165], v[158:159]
	v_add_f64 v[84:85], v[10:11], v[84:85]
	v_fmac_f64_e32 v[148:149], v[14:15], v[180:181]
	v_add_f64 v[10:11], v[140:141], v[154:155]
	v_fmac_f64_e32 v[158:159], v[2:3], v[156:157]
	v_mul_f64 v[2:3], v[86:87], v[170:171]
	v_add_f64 v[12:13], v[150:151], -v[148:149]
	s_waitcnt lgkmcnt(0)
	v_fma_f64 v[10:11], -0.5, v[10:11], v[172:173]
	v_fmac_f64_e32 v[2:3], v[8:9], v[168:169]
	v_fma_f64 v[14:15], s[0:1], v[12:13], v[10:11]
	v_add_f64 v[8:9], v[158:159], -v[2:3]
	v_fmac_f64_e32 v[10:11], s[10:11], v[12:13]
	v_fmac_f64_e32 v[14:15], s[2:3], v[8:9]
	;; [unrolled: 1-line block ×5, first 2 shown]
	v_add_f64 v[82:83], v[140:141], -v[24:25]
	v_add_f64 v[84:85], v[154:155], -v[144:145]
	v_add_f64 v[82:83], v[82:83], v[84:85]
	v_add_f64 v[84:85], v[24:25], v[144:145]
	v_fma_f64 v[84:85], -0.5, v[84:85], v[172:173]
	v_fma_f64 v[142:143], s[10:11], v[8:9], v[84:85]
	v_fmac_f64_e32 v[84:85], s[0:1], v[8:9]
	v_add_f64 v[8:9], v[140:141], v[172:173]
	v_add_f64 v[8:9], v[24:25], v[8:9]
	;; [unrolled: 1-line block ×3, first 2 shown]
	v_fmac_f64_e32 v[142:143], s[2:3], v[12:13]
	v_fmac_f64_e32 v[84:85], s[12:13], v[12:13]
	v_add_f64 v[146:147], v[154:155], v[8:9]
	v_add_f64 v[8:9], v[150:151], -v[158:159]
	v_add_f64 v[12:13], v[148:149], -v[2:3]
	v_fmac_f64_e32 v[142:143], s[4:5], v[82:83]
	v_fmac_f64_e32 v[84:85], s[4:5], v[82:83]
	v_add_f64 v[82:83], v[8:9], v[12:13]
	v_add_f64 v[8:9], v[158:159], v[2:3]
	v_fma_f64 v[8:9], -0.5, v[8:9], v[152:153]
	v_add_f64 v[24:25], v[24:25], -v[144:145]
	v_add_f64 v[86:87], v[140:141], -v[154:155]
	v_fma_f64 v[12:13], s[10:11], v[24:25], v[8:9]
	v_fmac_f64_e32 v[8:9], s[0:1], v[24:25]
	v_fmac_f64_e32 v[12:13], s[12:13], v[86:87]
	;; [unrolled: 1-line block ×5, first 2 shown]
	v_add_f64 v[82:83], v[158:159], -v[150:151]
	v_add_f64 v[140:141], v[2:3], -v[148:149]
	v_add_f64 v[144:145], v[82:83], v[140:141]
	v_add_f64 v[82:83], v[150:151], v[148:149]
	v_fma_f64 v[82:83], -0.5, v[82:83], v[152:153]
	v_fma_f64 v[140:141], s[0:1], v[86:87], v[82:83]
	v_fmac_f64_e32 v[82:83], s[10:11], v[86:87]
	v_fmac_f64_e32 v[140:141], s[12:13], v[24:25]
	;; [unrolled: 1-line block ×3, first 2 shown]
	v_add_f64 v[24:25], v[152:153], v[158:159]
	v_add_f64 v[24:25], v[150:151], v[24:25]
	;; [unrolled: 1-line block ×3, first 2 shown]
	s_mov_b32 s0, 0x44d72045
	v_fmac_f64_e32 v[140:141], s[4:5], v[144:145]
	v_fmac_f64_e32 v[82:83], s[4:5], v[144:145]
	v_add_f64 v[144:145], v[24:25], v[2:3]
	v_mul_hi_u32 v2, v248, s0
	v_lshrrev_b32_e32 v2, 5, v2
	s_movk_i32 s1, 0x77
	v_mul_lo_u32 v2, v2, s1
	v_sub_u32_e32 v86, v248, v2
	v_mad_u64_u32 v[2:3], s[2:3], s16, v86, 0
	v_mov_b32_e32 v24, v3
	v_mad_u64_u32 v[24:25], s[2:3], s17, v86, v[24:25]
	v_mov_b32_e32 v3, v24
	v_lshl_add_u64 v[2:3], v[2:3], 4, v[0:1]
	v_add_u32_e32 v25, 0x77, v86
	global_store_dwordx4 v[2:3], v[144:147], off
	v_mad_u64_u32 v[2:3], s[2:3], s16, v25, 0
	v_mov_b32_e32 v24, v3
	v_mad_u64_u32 v[24:25], s[2:3], s17, v25, v[24:25]
	v_mov_b32_e32 v3, v24
	v_lshl_add_u64 v[2:3], v[2:3], 4, v[0:1]
	v_add_u32_e32 v25, 0xee, v86
	global_store_dwordx4 v[2:3], v[82:85], off
	v_mad_u64_u32 v[2:3], s[2:3], s16, v25, 0
	v_mov_b32_e32 v24, v3
	v_mad_u64_u32 v[24:25], s[2:3], s17, v25, v[24:25]
	v_mov_b32_e32 v3, v24
	v_lshl_add_u64 v[2:3], v[2:3], 4, v[0:1]
	global_store_dwordx4 v[2:3], v[8:11], off
	s_nop 1
	v_add_u32_e32 v9, 0x165, v86
	v_mad_u64_u32 v[2:3], s[2:3], s16, v9, 0
	v_mov_b32_e32 v8, v3
	v_mad_u64_u32 v[8:9], s[2:3], s17, v9, v[8:9]
	v_mov_b32_e32 v3, v8
	v_lshl_add_u64 v[2:3], v[2:3], 4, v[0:1]
	v_add_u32_e32 v9, 0x1dc, v86
	global_store_dwordx4 v[2:3], v[12:15], off
	v_mad_u64_u32 v[2:3], s[2:3], s16, v9, 0
	v_mov_b32_e32 v8, v3
	v_mad_u64_u32 v[8:9], s[2:3], s17, v9, v[8:9]
	v_mov_b32_e32 v3, v8
	v_lshl_add_u64 v[2:3], v[2:3], 4, v[0:1]
	global_store_dwordx4 v[2:3], v[140:143], off
	v_add_u32_e32 v2, 17, v248
	v_mul_hi_u32 v3, v2, s0
	v_lshrrev_b32_e32 v3, 5, v3
	v_mul_lo_u32 v8, v3, s1
	v_sub_u32_e32 v2, v2, v8
	s_movk_i32 s2, 0x253
	v_mad_u64_u32 v[2:3], s[4:5], v3, s2, v[2:3]
	v_mad_u64_u32 v[8:9], s[4:5], s16, v2, 0
	v_mov_b32_e32 v10, v9
	v_mad_u64_u32 v[10:11], s[4:5], s17, v2, v[10:11]
	v_mov_b32_e32 v9, v10
	v_lshl_add_u64 v[8:9], v[8:9], 4, v[0:1]
	v_add_u32_e32 v3, 0x77, v2
	global_store_dwordx4 v[8:9], v[136:139], off
	v_mad_u64_u32 v[8:9], s[4:5], s16, v3, 0
	v_mov_b32_e32 v10, v9
	v_mad_u64_u32 v[10:11], s[4:5], s17, v3, v[10:11]
	v_mov_b32_e32 v9, v10
	v_lshl_add_u64 v[8:9], v[8:9], 4, v[0:1]
	v_add_u32_e32 v3, 0xee, v2
	global_store_dwordx4 v[8:9], v[132:135], off
	;; [unrolled: 7-line block ×3, first 2 shown]
	v_mad_u64_u32 v[8:9], s[4:5], s16, v3, 0
	v_mov_b32_e32 v10, v9
	v_mad_u64_u32 v[10:11], s[4:5], s17, v3, v[10:11]
	v_mov_b32_e32 v9, v10
	v_lshl_add_u64 v[8:9], v[8:9], 4, v[0:1]
	global_store_dwordx4 v[8:9], v[4:7], off
	s_nop 1
	v_add_u32_e32 v5, 0x1dc, v2
	v_mad_u64_u32 v[2:3], s[4:5], s16, v5, 0
	v_mov_b32_e32 v4, v3
	v_mad_u64_u32 v[4:5], s[4:5], s17, v5, v[4:5]
	v_mov_b32_e32 v3, v4
	v_lshl_add_u64 v[2:3], v[2:3], 4, v[0:1]
	global_store_dwordx4 v[2:3], v[16:19], off
	v_add_u32_e32 v2, 34, v248
	v_mul_hi_u32 v3, v2, s0
	v_lshrrev_b32_e32 v3, 5, v3
	v_mul_lo_u32 v4, v3, s1
	v_sub_u32_e32 v2, v2, v4
	v_mad_u64_u32 v[2:3], s[4:5], v3, s2, v[2:3]
	v_mad_u64_u32 v[4:5], s[4:5], s16, v2, 0
	v_mov_b32_e32 v6, v5
	v_mad_u64_u32 v[6:7], s[4:5], s17, v2, v[6:7]
	v_mov_b32_e32 v5, v6
	v_lshl_add_u64 v[4:5], v[4:5], 4, v[0:1]
	v_add_u32_e32 v3, 0x77, v2
	global_store_dwordx4 v[4:5], v[128:131], off
	v_mad_u64_u32 v[4:5], s[4:5], s16, v3, 0
	v_mov_b32_e32 v6, v5
	v_mad_u64_u32 v[6:7], s[4:5], s17, v3, v[6:7]
	v_mov_b32_e32 v5, v6
	v_lshl_add_u64 v[4:5], v[4:5], 4, v[0:1]
	v_add_u32_e32 v3, 0xee, v2
	global_store_dwordx4 v[4:5], v[124:127], off
	v_mad_u64_u32 v[4:5], s[4:5], s16, v3, 0
	v_mov_b32_e32 v6, v5
	v_mad_u64_u32 v[6:7], s[4:5], s17, v3, v[6:7]
	v_mov_b32_e32 v5, v6
	v_lshl_add_u64 v[4:5], v[4:5], 4, v[0:1]
	v_add_u32_e32 v3, 0x165, v2
	global_store_dwordx4 v[4:5], v[120:123], off
	v_mad_u64_u32 v[4:5], s[4:5], s16, v3, 0
	v_mov_b32_e32 v6, v5
	v_mad_u64_u32 v[6:7], s[4:5], s17, v3, v[6:7]
	v_mov_b32_e32 v5, v6
	v_lshl_add_u64 v[4:5], v[4:5], 4, v[0:1]
	global_store_dwordx4 v[4:5], v[30:33], off
	v_add_u32_e32 v5, 0x1dc, v2
	v_mad_u64_u32 v[2:3], s[4:5], s16, v5, 0
	v_mov_b32_e32 v4, v3
	v_mad_u64_u32 v[4:5], s[4:5], s17, v5, v[4:5]
	v_mov_b32_e32 v3, v4
	v_lshl_add_u64 v[2:3], v[2:3], 4, v[0:1]
	global_store_dwordx4 v[2:3], v[46:49], off
	v_add_u32_e32 v2, 51, v248
	v_mul_hi_u32 v3, v2, s0
	v_lshrrev_b32_e32 v3, 5, v3
	v_mul_lo_u32 v4, v3, s1
	v_sub_u32_e32 v2, v2, v4
	v_mad_u64_u32 v[2:3], s[4:5], v3, s2, v[2:3]
	v_mad_u64_u32 v[4:5], s[4:5], s16, v2, 0
	v_mov_b32_e32 v6, v5
	v_mad_u64_u32 v[6:7], s[4:5], s17, v2, v[6:7]
	v_mov_b32_e32 v5, v6
	v_lshl_add_u64 v[4:5], v[4:5], 4, v[0:1]
	v_add_u32_e32 v3, 0x77, v2
	global_store_dwordx4 v[4:5], v[116:119], off
	v_mad_u64_u32 v[4:5], s[4:5], s16, v3, 0
	v_mov_b32_e32 v6, v5
	v_mad_u64_u32 v[6:7], s[4:5], s17, v3, v[6:7]
	v_mov_b32_e32 v5, v6
	v_lshl_add_u64 v[4:5], v[4:5], 4, v[0:1]
	v_add_u32_e32 v3, 0xee, v2
	global_store_dwordx4 v[4:5], v[112:115], off
	v_mad_u64_u32 v[4:5], s[4:5], s16, v3, 0
	v_mov_b32_e32 v6, v5
	v_mad_u64_u32 v[6:7], s[4:5], s17, v3, v[6:7]
	v_mov_b32_e32 v5, v6
	v_lshl_add_u64 v[4:5], v[4:5], 4, v[0:1]
	v_add_u32_e32 v3, 0x165, v2
	global_store_dwordx4 v[4:5], v[108:111], off
	v_mad_u64_u32 v[4:5], s[4:5], s16, v3, 0
	v_mov_b32_e32 v6, v5
	v_mad_u64_u32 v[6:7], s[4:5], s17, v3, v[6:7]
	v_mov_b32_e32 v5, v6
	v_lshl_add_u64 v[4:5], v[4:5], 4, v[0:1]
	global_store_dwordx4 v[4:5], v[54:57], off
	;; [unrolled: 40-line block ×5, first 2 shown]
	v_add_u32_e32 v5, 0x1dc, v2
	v_mad_u64_u32 v[2:3], s[0:1], s16, v5, 0
	v_mov_b32_e32 v4, v3
	v_mad_u64_u32 v[4:5], s[0:1], s17, v5, v[4:5]
	v_mov_b32_e32 v3, v4
	v_lshl_add_u64 v[0:1], v[2:3], 4, v[0:1]
	global_store_dwordx4 v[0:1], v[26:29], off
.LBB0_22:
	s_endpgm
	.section	.rodata,"a",@progbits
	.p2align	6, 0x0
	.amdhsa_kernel fft_rtc_back_len595_factors_7_17_5_wgs_51_tpt_17_halfLds_dp_op_CI_CI_sbrr_dirReg
		.amdhsa_group_segment_fixed_size 0
		.amdhsa_private_segment_fixed_size 0
		.amdhsa_kernarg_size 104
		.amdhsa_user_sgpr_count 2
		.amdhsa_user_sgpr_dispatch_ptr 0
		.amdhsa_user_sgpr_queue_ptr 0
		.amdhsa_user_sgpr_kernarg_segment_ptr 1
		.amdhsa_user_sgpr_dispatch_id 0
		.amdhsa_user_sgpr_kernarg_preload_length 0
		.amdhsa_user_sgpr_kernarg_preload_offset 0
		.amdhsa_user_sgpr_private_segment_size 0
		.amdhsa_uses_dynamic_stack 0
		.amdhsa_enable_private_segment 0
		.amdhsa_system_sgpr_workgroup_id_x 1
		.amdhsa_system_sgpr_workgroup_id_y 0
		.amdhsa_system_sgpr_workgroup_id_z 0
		.amdhsa_system_sgpr_workgroup_info 0
		.amdhsa_system_vgpr_workitem_id 0
		.amdhsa_next_free_vgpr 312
		.amdhsa_next_free_sgpr 62
		.amdhsa_accum_offset 256
		.amdhsa_reserve_vcc 1
		.amdhsa_float_round_mode_32 0
		.amdhsa_float_round_mode_16_64 0
		.amdhsa_float_denorm_mode_32 3
		.amdhsa_float_denorm_mode_16_64 3
		.amdhsa_dx10_clamp 1
		.amdhsa_ieee_mode 1
		.amdhsa_fp16_overflow 0
		.amdhsa_tg_split 0
		.amdhsa_exception_fp_ieee_invalid_op 0
		.amdhsa_exception_fp_denorm_src 0
		.amdhsa_exception_fp_ieee_div_zero 0
		.amdhsa_exception_fp_ieee_overflow 0
		.amdhsa_exception_fp_ieee_underflow 0
		.amdhsa_exception_fp_ieee_inexact 0
		.amdhsa_exception_int_div_zero 0
	.end_amdhsa_kernel
	.text
.Lfunc_end0:
	.size	fft_rtc_back_len595_factors_7_17_5_wgs_51_tpt_17_halfLds_dp_op_CI_CI_sbrr_dirReg, .Lfunc_end0-fft_rtc_back_len595_factors_7_17_5_wgs_51_tpt_17_halfLds_dp_op_CI_CI_sbrr_dirReg
                                        ; -- End function
	.section	.AMDGPU.csdata,"",@progbits
; Kernel info:
; codeLenInByte = 34004
; NumSgprs: 68
; NumVgprs: 256
; NumAgprs: 56
; TotalNumVgprs: 312
; ScratchSize: 0
; MemoryBound: 1
; FloatMode: 240
; IeeeMode: 1
; LDSByteSize: 0 bytes/workgroup (compile time only)
; SGPRBlocks: 8
; VGPRBlocks: 38
; NumSGPRsForWavesPerEU: 68
; NumVGPRsForWavesPerEU: 312
; AccumOffset: 256
; Occupancy: 1
; WaveLimiterHint : 1
; COMPUTE_PGM_RSRC2:SCRATCH_EN: 0
; COMPUTE_PGM_RSRC2:USER_SGPR: 2
; COMPUTE_PGM_RSRC2:TRAP_HANDLER: 0
; COMPUTE_PGM_RSRC2:TGID_X_EN: 1
; COMPUTE_PGM_RSRC2:TGID_Y_EN: 0
; COMPUTE_PGM_RSRC2:TGID_Z_EN: 0
; COMPUTE_PGM_RSRC2:TIDIG_COMP_CNT: 0
; COMPUTE_PGM_RSRC3_GFX90A:ACCUM_OFFSET: 63
; COMPUTE_PGM_RSRC3_GFX90A:TG_SPLIT: 0
	.text
	.p2alignl 6, 3212836864
	.fill 256, 4, 3212836864
	.type	__hip_cuid_d333af91e11874c9,@object ; @__hip_cuid_d333af91e11874c9
	.section	.bss,"aw",@nobits
	.globl	__hip_cuid_d333af91e11874c9
__hip_cuid_d333af91e11874c9:
	.byte	0                               ; 0x0
	.size	__hip_cuid_d333af91e11874c9, 1

	.ident	"AMD clang version 19.0.0git (https://github.com/RadeonOpenCompute/llvm-project roc-6.4.0 25133 c7fe45cf4b819c5991fe208aaa96edf142730f1d)"
	.section	".note.GNU-stack","",@progbits
	.addrsig
	.addrsig_sym __hip_cuid_d333af91e11874c9
	.amdgpu_metadata
---
amdhsa.kernels:
  - .agpr_count:     56
    .args:
      - .actual_access:  read_only
        .address_space:  global
        .offset:         0
        .size:           8
        .value_kind:     global_buffer
      - .offset:         8
        .size:           8
        .value_kind:     by_value
      - .actual_access:  read_only
        .address_space:  global
        .offset:         16
        .size:           8
        .value_kind:     global_buffer
      - .actual_access:  read_only
        .address_space:  global
        .offset:         24
        .size:           8
        .value_kind:     global_buffer
      - .actual_access:  read_only
        .address_space:  global
        .offset:         32
        .size:           8
        .value_kind:     global_buffer
      - .offset:         40
        .size:           8
        .value_kind:     by_value
      - .actual_access:  read_only
        .address_space:  global
        .offset:         48
        .size:           8
        .value_kind:     global_buffer
      - .actual_access:  read_only
        .address_space:  global
        .offset:         56
        .size:           8
        .value_kind:     global_buffer
      - .offset:         64
        .size:           4
        .value_kind:     by_value
      - .actual_access:  read_only
        .address_space:  global
        .offset:         72
        .size:           8
        .value_kind:     global_buffer
      - .actual_access:  read_only
        .address_space:  global
        .offset:         80
        .size:           8
        .value_kind:     global_buffer
      - .actual_access:  read_only
        .address_space:  global
        .offset:         88
        .size:           8
        .value_kind:     global_buffer
      - .actual_access:  write_only
        .address_space:  global
        .offset:         96
        .size:           8
        .value_kind:     global_buffer
    .group_segment_fixed_size: 0
    .kernarg_segment_align: 8
    .kernarg_segment_size: 104
    .language:       OpenCL C
    .language_version:
      - 2
      - 0
    .max_flat_workgroup_size: 51
    .name:           fft_rtc_back_len595_factors_7_17_5_wgs_51_tpt_17_halfLds_dp_op_CI_CI_sbrr_dirReg
    .private_segment_fixed_size: 0
    .sgpr_count:     68
    .sgpr_spill_count: 0
    .symbol:         fft_rtc_back_len595_factors_7_17_5_wgs_51_tpt_17_halfLds_dp_op_CI_CI_sbrr_dirReg.kd
    .uniform_work_group_size: 1
    .uses_dynamic_stack: false
    .vgpr_count:     312
    .vgpr_spill_count: 0
    .wavefront_size: 64
amdhsa.target:   amdgcn-amd-amdhsa--gfx950
amdhsa.version:
  - 1
  - 2
...

	.end_amdgpu_metadata
